;; amdgpu-corpus repo=ggml-org/llama.cpp kind=compiled arch=gfx90a opt=O3
	.text
	.amdgcn_target "amdgcn-amd-amdhsa--gfx90a"
	.amdhsa_code_object_version 6
	.section	.text._ZL10tri_kernelIfLb1ELi0EEvPKT_PS0_llllllllllll,"axG",@progbits,_ZL10tri_kernelIfLb1ELi0EEvPKT_PS0_llllllllllll,comdat
	.globl	_ZL10tri_kernelIfLb1ELi0EEvPKT_PS0_llllllllllll ; -- Begin function _ZL10tri_kernelIfLb1ELi0EEvPKT_PS0_llllllllllll
	.p2align	8
	.type	_ZL10tri_kernelIfLb1ELi0EEvPKT_PS0_llllllllllll,@function
_ZL10tri_kernelIfLb1ELi0EEvPKT_PS0_llllllllllll: ; @_ZL10tri_kernelIfLb1ELi0EEvPKT_PS0_llllllllllll
; %bb.0:
	s_load_dwordx8 s[12:19], s[4:5], 0x0
	s_load_dwordx4 s[0:3], s[4:5], 0x20
	s_mov_b32 s9, 0
	s_mov_b32 s20, s7
	;; [unrolled: 1-line block ×3, first 2 shown]
	s_waitcnt lgkmcnt(0)
	v_mov_b32_e32 v2, s18
	v_mov_b32_e32 v4, s0
	;; [unrolled: 1-line block ×6, first 2 shown]
	s_mov_b32 s7, s9
	v_cmp_ge_i64_e32 vcc, s[8:9], v[6:7]
	v_cmp_ge_i64_e64 s[0:1], s[20:21], v[4:5]
	s_or_b64 s[0:1], s[0:1], vcc
	v_cmp_ge_i64_e32 vcc, s[6:7], v[2:3]
	s_or_b64 s[0:1], vcc, s[0:1]
	s_and_b64 vcc, exec, s[0:1]
	s_cbranch_vccnz .LBB0_16
; %bb.1:
	s_load_dwordx4 s[24:27], s[4:5], 0x58
	s_load_dwordx2 s[0:1], s[4:5], 0x68
	v_mov_b32_e32 v1, 0
	v_cmp_gt_u32_e32 vcc, s6, v0
	s_waitcnt lgkmcnt(0)
	s_mul_i32 s3, s6, s25
	s_mul_hi_u32 s9, s6, s24
	s_mul_i32 s10, s20, s27
	s_add_i32 s3, s9, s3
	s_mul_hi_u32 s9, s20, s26
	s_add_i32 s11, s9, s10
	s_mul_i32 s1, s8, s1
	s_mul_hi_u32 s9, s8, s0
	s_mul_i32 s2, s6, s24
	s_mul_i32 s10, s20, s26
	s_add_i32 s19, s9, s1
	s_mul_i32 s18, s8, s0
	s_and_saveexec_b64 s[0:1], vcc
	s_cbranch_execz .LBB0_4
; %bb.2:
	s_load_dword s9, s[4:5], 0x7c
	s_load_dwordx4 s[24:27], s[4:5], 0x38
	s_load_dwordx2 s[28:29], s[4:5], 0x48
	s_lshl_b64 s[22:23], s[18:19], 2
	s_lshl_b64 s[30:31], s[10:11], 2
	s_waitcnt lgkmcnt(0)
	s_and_b32 s21, s9, 0xffff
	s_add_u32 s9, s22, s30
	s_addc_u32 s30, s23, s31
	s_lshl_b64 s[22:23], s[2:3], 2
	s_add_u32 s9, s9, s22
	s_addc_u32 s22, s30, s23
	v_lshlrev_b32_e32 v2, 2, v0
	s_add_u32 s9, s14, s9
	v_add_co_u32_e32 v4, vcc, s9, v2
	s_mul_i32 s9, s29, s8
	s_mul_hi_u32 s23, s28, s8
	s_addc_u32 s22, s15, s22
	s_add_i32 s9, s23, s9
	s_mul_i32 s23, s27, s20
	s_mul_hi_u32 s27, s26, s20
	s_mul_i32 s8, s28, s8
	s_add_i32 s27, s27, s23
	s_mul_i32 s26, s26, s20
	v_mov_b32_e32 v3, s22
	s_lshl_b32 s22, s21, 2
	s_lshl_b64 s[8:9], s[8:9], 2
	s_lshl_b64 s[26:27], s[26:27], 2
	s_add_u32 s20, s8, s26
	s_addc_u32 s23, s9, s27
	s_mul_i32 s8, s25, s6
	s_mul_hi_u32 s9, s24, s6
	s_add_i32 s9, s9, s8
	s_mul_i32 s8, s24, s6
	s_lshl_b64 s[8:9], s[8:9], 2
	s_add_u32 s8, s20, s8
	s_addc_u32 s9, s23, s9
	s_add_u32 s8, s12, s8
	v_addc_co_u32_e32 v5, vcc, 0, v3, vcc
	s_addc_u32 s9, s13, s9
	s_mov_b32 s33, 0
	v_mov_b32_e32 v3, s9
	v_add_co_u32_e32 v6, vcc, s8, v2
	v_addc_co_u32_e32 v7, vcc, 0, v3, vcc
	s_mov_b64 s[8:9], 0
	v_mov_b32_e32 v8, s33
	s_mov_b64 s[12:13], 0
	v_pk_mov_b32 v[2:3], v[0:1], v[0:1] op_sel:[0,1]
.LBB0_3:                                ; =>This Inner Loop Header: Depth=1
	v_mov_b32_e32 v1, s13
	v_add_co_u32_e32 v10, vcc, s12, v6
	v_addc_co_u32_e32 v11, vcc, v7, v1, vcc
	global_load_dword v9, v[10:11], off
	v_add_co_u32_e32 v2, vcc, s21, v2
	v_addc_co_u32_e32 v3, vcc, v3, v8, vcc
	v_add_co_u32_e32 v10, vcc, s12, v4
	s_add_u32 s12, s12, s22
	v_addc_co_u32_e32 v11, vcc, v5, v1, vcc
	s_addc_u32 s13, s13, 0
	v_cmp_le_u64_e32 vcc, s[6:7], v[2:3]
	s_or_b64 s[8:9], vcc, s[8:9]
	s_waitcnt vmcnt(0)
	global_store_dword v[10:11], v9, off
	s_andn2_b64 exec, exec, s[8:9]
	s_cbranch_execnz .LBB0_3
.LBB0_4:
	s_or_b64 exec, exec, s[0:1]
	v_mov_b32_e32 v1, s7
	v_add_co_u32_e32 v0, vcc, s6, v0
	v_addc_co_u32_e32 v1, vcc, 0, v1, vcc
	v_cmp_gt_i64_e32 vcc, s[16:17], v[0:1]
	s_and_saveexec_b64 s[0:1], vcc
	s_cbranch_execz .LBB0_16
; %bb.5:
	s_load_dword s0, s[4:5], 0x7c
	v_mov_b32_e32 v2, s17
	s_mov_b32 s9, 0
	s_waitcnt lgkmcnt(0)
	s_and_b32 s8, s0, 0xffff
	v_add_co_u32_e32 v4, vcc, s8, v0
	v_addc_co_u32_e32 v5, vcc, 0, v1, vcc
	v_cmp_gt_i64_e32 vcc, s[16:17], v[4:5]
	v_cndmask_b32_e32 v6, v5, v2, vcc
	v_mov_b32_e32 v2, s16
	v_cndmask_b32_e32 v3, v4, v2, vcc
	v_cndmask_b32_e64 v2, 0, 1, vcc
	v_add_co_u32_e32 v4, vcc, v4, v2
	v_addc_co_u32_e32 v5, vcc, 0, v5, vcc
	v_sub_co_u32_e32 v3, vcc, v3, v4
	v_subb_co_u32_e32 v5, vcc, v6, v5, vcc
	v_mov_b32_e32 v4, 0
	v_cmp_ne_u64_e32 vcc, 0, v[4:5]
                                        ; implicit-def: $vgpr6_vgpr7
	s_and_saveexec_b64 s[0:1], vcc
	s_xor_b64 s[4:5], exec, s[0:1]
	s_cbranch_execz .LBB0_7
; %bb.6:
	v_cvt_f32_u32_e32 v4, s8
	v_mov_b32_e32 v6, 0x4f800000
	s_sub_u32 s0, 0, s8
	s_subb_u32 s1, 0, 0
	v_mac_f32_e32 v4, 0, v6
	v_rcp_f32_e32 v4, v4
	v_mul_f32_e32 v4, 0x5f7ffffc, v4
	v_mul_f32_e32 v6, 0x2f800000, v4
	v_trunc_f32_e32 v6, v6
	v_madmk_f32 v4, v6, 0xcf800000, v4
	v_cvt_u32_f32_e32 v6, v6
	v_cvt_u32_f32_e32 v4, v4
	v_mul_lo_u32 v7, s0, v6
	v_mul_hi_u32 v9, s0, v4
	v_mul_lo_u32 v8, s1, v4
	v_add_u32_e32 v7, v9, v7
	v_mul_lo_u32 v10, s0, v4
	v_add_u32_e32 v7, v7, v8
	v_mul_hi_u32 v9, v4, v10
	v_mul_lo_u32 v11, v4, v7
	v_mul_hi_u32 v8, v4, v7
	v_add_co_u32_e32 v9, vcc, v9, v11
	v_addc_co_u32_e32 v8, vcc, 0, v8, vcc
	v_mul_hi_u32 v12, v6, v10
	v_mul_lo_u32 v10, v6, v10
	v_add_co_u32_e32 v9, vcc, v9, v10
	v_mul_hi_u32 v11, v6, v7
	v_addc_co_u32_e32 v8, vcc, v8, v12, vcc
	v_addc_co_u32_e32 v9, vcc, 0, v11, vcc
	v_mul_lo_u32 v7, v6, v7
	v_add_co_u32_e32 v7, vcc, v8, v7
	v_addc_co_u32_e32 v8, vcc, 0, v9, vcc
	v_add_co_u32_e32 v4, vcc, v4, v7
	v_addc_co_u32_e32 v6, vcc, v6, v8, vcc
	v_mul_lo_u32 v7, s0, v6
	v_mul_hi_u32 v8, s0, v4
	v_add_u32_e32 v7, v8, v7
	v_mul_lo_u32 v8, s1, v4
	v_add_u32_e32 v7, v7, v8
	v_mul_lo_u32 v9, s0, v4
	v_mul_hi_u32 v10, v6, v9
	v_mul_lo_u32 v11, v6, v9
	v_mul_lo_u32 v13, v4, v7
	v_mul_hi_u32 v9, v4, v9
	v_mul_hi_u32 v12, v4, v7
	v_add_co_u32_e32 v9, vcc, v9, v13
	v_addc_co_u32_e32 v12, vcc, 0, v12, vcc
	v_add_co_u32_e32 v9, vcc, v9, v11
	v_mul_hi_u32 v8, v6, v7
	v_addc_co_u32_e32 v9, vcc, v12, v10, vcc
	v_addc_co_u32_e32 v8, vcc, 0, v8, vcc
	v_mul_lo_u32 v7, v6, v7
	v_add_co_u32_e32 v7, vcc, v9, v7
	v_addc_co_u32_e32 v8, vcc, 0, v8, vcc
	v_add_co_u32_e32 v4, vcc, v4, v7
	v_addc_co_u32_e32 v8, vcc, v6, v8, vcc
	v_mad_u64_u32 v[6:7], s[0:1], v3, v8, 0
	v_mul_hi_u32 v9, v3, v4
	v_add_co_u32_e32 v10, vcc, v9, v6
	v_addc_co_u32_e32 v11, vcc, 0, v7, vcc
	v_mad_u64_u32 v[6:7], s[0:1], v5, v8, 0
	v_mad_u64_u32 v[8:9], s[0:1], v5, v4, 0
	v_add_co_u32_e32 v4, vcc, v10, v8
	v_addc_co_u32_e32 v4, vcc, v11, v9, vcc
	v_addc_co_u32_e32 v7, vcc, 0, v7, vcc
	v_add_co_u32_e32 v10, vcc, v4, v6
	v_addc_co_u32_e32 v11, vcc, 0, v7, vcc
	v_mad_u64_u32 v[6:7], s[0:1], s8, v10, 0
	v_mov_b32_e32 v4, v7
	v_mad_u64_u32 v[8:9], s[0:1], s8, v11, v[4:5]
	v_sub_co_u32_e32 v3, vcc, v3, v6
	v_subb_co_u32_e32 v4, vcc, v5, v8, vcc
	v_subrev_co_u32_e32 v5, vcc, s8, v3
	v_subbrev_co_u32_e32 v6, vcc, 0, v4, vcc
	v_cmp_le_u32_e32 vcc, s8, v5
	v_cndmask_b32_e64 v5, 0, -1, vcc
	v_cmp_eq_u32_e32 vcc, 0, v6
	v_cndmask_b32_e32 v5, -1, v5, vcc
	v_add_co_u32_e32 v6, vcc, 2, v10
	v_addc_co_u32_e32 v7, vcc, 0, v11, vcc
	v_add_co_u32_e32 v8, vcc, 1, v10
	v_cmp_le_u32_e64 s[0:1], s8, v3
	v_addc_co_u32_e32 v9, vcc, 0, v11, vcc
	v_cndmask_b32_e64 v3, 0, -1, s[0:1]
	v_cmp_eq_u32_e64 s[0:1], 0, v4
	v_cmp_ne_u32_e32 vcc, 0, v5
	v_cndmask_b32_e64 v3, -1, v3, s[0:1]
	v_cndmask_b32_e32 v5, v9, v7, vcc
	v_cmp_ne_u32_e64 s[0:1], 0, v3
	v_cndmask_b32_e32 v3, v8, v6, vcc
	v_cndmask_b32_e64 v7, v11, v5, s[0:1]
	v_cndmask_b32_e64 v6, v10, v3, s[0:1]
                                        ; implicit-def: $vgpr3
.LBB0_7:
	s_andn2_saveexec_b64 s[0:1], s[4:5]
	s_cbranch_execz .LBB0_9
; %bb.8:
	v_cvt_f32_u32_e32 v4, s8
	s_sub_i32 s4, 0, s8
	v_mov_b32_e32 v7, 0
	v_rcp_iflag_f32_e32 v4, v4
	v_mul_f32_e32 v4, 0x4f7ffffe, v4
	v_cvt_u32_f32_e32 v4, v4
	v_mul_lo_u32 v5, s4, v4
	v_mul_hi_u32 v5, v4, v5
	v_add_u32_e32 v4, v4, v5
	v_mul_hi_u32 v4, v3, v4
	v_mul_lo_u32 v5, v4, s8
	v_sub_u32_e32 v3, v3, v5
	v_add_u32_e32 v6, 1, v4
	v_subrev_u32_e32 v5, s8, v3
	v_cmp_le_u32_e32 vcc, s8, v3
	v_cndmask_b32_e32 v3, v3, v5, vcc
	v_cndmask_b32_e32 v4, v4, v6, vcc
	v_add_u32_e32 v5, 1, v4
	v_cmp_le_u32_e32 vcc, s8, v3
	v_cndmask_b32_e32 v6, v4, v5, vcc
.LBB0_9:
	s_or_b64 exec, exec, s[0:1]
	v_add_co_u32_e32 v2, vcc, v6, v2
	v_addc_co_u32_e32 v3, vcc, 0, v7, vcc
	v_add_co_u32_e32 v2, vcc, 1, v2
	v_addc_co_u32_e32 v3, vcc, 0, v3, vcc
	v_cmp_lt_u64_e32 vcc, 1, v[2:3]
	v_cmp_eq_u16_e64 s[0:1], s8, 1
	s_and_b64 s[6:7], vcc, s[0:1]
	s_mov_b64 s[0:1], -1
	s_and_saveexec_b64 s[4:5], s[6:7]
	s_cbranch_execz .LBB0_13
; %bb.10:
	s_lshl_b64 s[0:1], s[2:3], 2
	s_add_u32 s6, s14, s0
	s_addc_u32 s7, s15, s1
	s_lshl_b64 s[0:1], s[10:11], 2
	s_add_u32 s6, s6, s0
	s_addc_u32 s7, s7, s1
	;; [unrolled: 3-line block ×3, first 2 shown]
	v_lshlrev_b64 v[6:7], 2, v[0:1]
	v_mov_b32_e32 v8, s1
	v_add_co_u32_e32 v6, vcc, s0, v6
	v_and_b32_e32 v4, -2, v2
	v_mov_b32_e32 v5, v3
	v_addc_co_u32_e32 v7, vcc, v8, v7, vcc
	s_mov_b32 s0, 0
	v_mov_b32_e32 v8, 0
	s_lshl_b32 s12, s8, 3
	s_mov_b64 s[6:7], 0
	v_mov_b32_e32 v9, v8
	v_mov_b32_e32 v12, s0
	v_pk_mov_b32 v[10:11], v[4:5], v[4:5] op_sel:[0,1]
.LBB0_11:                               ; =>This Inner Loop Header: Depth=1
	v_add_co_u32_e32 v10, vcc, -2, v10
	v_addc_co_u32_e32 v11, vcc, -1, v11, vcc
	global_store_dwordx2 v[6:7], v[8:9], off
	v_add_co_u32_e32 v6, vcc, s12, v6
	v_cmp_eq_u64_e64 s[0:1], 0, v[10:11]
	s_or_b64 s[6:7], s[0:1], s[6:7]
	v_addc_co_u32_e32 v7, vcc, v7, v12, vcc
	s_andn2_b64 exec, exec, s[6:7]
	s_cbranch_execnz .LBB0_11
; %bb.12:
	s_or_b64 exec, exec, s[6:7]
	v_mad_u64_u32 v[0:1], s[0:1], v4, s8, v[0:1]
	v_mov_b32_e32 v6, v1
	v_mad_u64_u32 v[6:7], s[0:1], v5, s8, v[6:7]
	v_cmp_ne_u64_e32 vcc, v[2:3], v[4:5]
	v_mov_b32_e32 v1, v6
	s_orn2_b64 s[0:1], vcc, exec
.LBB0_13:
	s_or_b64 exec, exec, s[4:5]
	s_and_b64 exec, exec, s[0:1]
	s_cbranch_execz .LBB0_16
; %bb.14:
	s_lshl_b64 s[0:1], s[18:19], 2
	s_lshl_b64 s[4:5], s[10:11], 2
	s_add_u32 s4, s0, s4
	s_addc_u32 s5, s1, s5
	s_lshl_b64 s[0:1], s[2:3], 2
	s_add_u32 s0, s4, s0
	s_addc_u32 s1, s5, s1
	s_add_u32 s0, s14, s0
	v_lshlrev_b64 v[2:3], 2, v[0:1]
	s_addc_u32 s1, s15, s1
	v_mov_b32_e32 v4, s1
	v_add_co_u32_e32 v2, vcc, s0, v2
	s_mov_b32 s0, 0
	v_addc_co_u32_e32 v3, vcc, v4, v3, vcc
	s_lshl_b32 s4, s8, 2
	s_mov_b64 s[2:3], 0
	v_mov_b32_e32 v4, 0
	v_mov_b32_e32 v5, s9
	;; [unrolled: 1-line block ×3, first 2 shown]
.LBB0_15:                               ; =>This Inner Loop Header: Depth=1
	v_add_co_u32_e32 v0, vcc, s8, v0
	v_addc_co_u32_e32 v1, vcc, v1, v5, vcc
	global_store_dword v[2:3], v4, off
	v_add_co_u32_e32 v2, vcc, s4, v2
	v_cmp_le_i64_e64 s[0:1], s[16:17], v[0:1]
	s_or_b64 s[2:3], s[0:1], s[2:3]
	v_addc_co_u32_e32 v3, vcc, v3, v6, vcc
	s_andn2_b64 exec, exec, s[2:3]
	s_cbranch_execnz .LBB0_15
.LBB0_16:
	s_endpgm
	.section	.rodata,"a",@progbits
	.p2align	6, 0x0
	.amdhsa_kernel _ZL10tri_kernelIfLb1ELi0EEvPKT_PS0_llllllllllll
		.amdhsa_group_segment_fixed_size 0
		.amdhsa_private_segment_fixed_size 0
		.amdhsa_kernarg_size 368
		.amdhsa_user_sgpr_count 6
		.amdhsa_user_sgpr_private_segment_buffer 1
		.amdhsa_user_sgpr_dispatch_ptr 0
		.amdhsa_user_sgpr_queue_ptr 0
		.amdhsa_user_sgpr_kernarg_segment_ptr 1
		.amdhsa_user_sgpr_dispatch_id 0
		.amdhsa_user_sgpr_flat_scratch_init 0
		.amdhsa_user_sgpr_kernarg_preload_length 0
		.amdhsa_user_sgpr_kernarg_preload_offset 0
		.amdhsa_user_sgpr_private_segment_size 0
		.amdhsa_uses_dynamic_stack 0
		.amdhsa_system_sgpr_private_segment_wavefront_offset 0
		.amdhsa_system_sgpr_workgroup_id_x 1
		.amdhsa_system_sgpr_workgroup_id_y 1
		.amdhsa_system_sgpr_workgroup_id_z 1
		.amdhsa_system_sgpr_workgroup_info 0
		.amdhsa_system_vgpr_workitem_id 0
		.amdhsa_next_free_vgpr 14
		.amdhsa_next_free_sgpr 34
		.amdhsa_accum_offset 16
		.amdhsa_reserve_vcc 1
		.amdhsa_reserve_flat_scratch 0
		.amdhsa_float_round_mode_32 0
		.amdhsa_float_round_mode_16_64 0
		.amdhsa_float_denorm_mode_32 3
		.amdhsa_float_denorm_mode_16_64 3
		.amdhsa_dx10_clamp 1
		.amdhsa_ieee_mode 1
		.amdhsa_fp16_overflow 0
		.amdhsa_tg_split 0
		.amdhsa_exception_fp_ieee_invalid_op 0
		.amdhsa_exception_fp_denorm_src 0
		.amdhsa_exception_fp_ieee_div_zero 0
		.amdhsa_exception_fp_ieee_overflow 0
		.amdhsa_exception_fp_ieee_underflow 0
		.amdhsa_exception_fp_ieee_inexact 0
		.amdhsa_exception_int_div_zero 0
	.end_amdhsa_kernel
	.section	.text._ZL10tri_kernelIfLb1ELi0EEvPKT_PS0_llllllllllll,"axG",@progbits,_ZL10tri_kernelIfLb1ELi0EEvPKT_PS0_llllllllllll,comdat
.Lfunc_end0:
	.size	_ZL10tri_kernelIfLb1ELi0EEvPKT_PS0_llllllllllll, .Lfunc_end0-_ZL10tri_kernelIfLb1ELi0EEvPKT_PS0_llllllllllll
                                        ; -- End function
	.section	.AMDGPU.csdata,"",@progbits
; Kernel info:
; codeLenInByte = 1588
; NumSgprs: 38
; NumVgprs: 14
; NumAgprs: 0
; TotalNumVgprs: 14
; ScratchSize: 0
; MemoryBound: 0
; FloatMode: 240
; IeeeMode: 1
; LDSByteSize: 0 bytes/workgroup (compile time only)
; SGPRBlocks: 4
; VGPRBlocks: 1
; NumSGPRsForWavesPerEU: 38
; NumVGPRsForWavesPerEU: 14
; AccumOffset: 16
; Occupancy: 8
; WaveLimiterHint : 0
; COMPUTE_PGM_RSRC2:SCRATCH_EN: 0
; COMPUTE_PGM_RSRC2:USER_SGPR: 6
; COMPUTE_PGM_RSRC2:TRAP_HANDLER: 0
; COMPUTE_PGM_RSRC2:TGID_X_EN: 1
; COMPUTE_PGM_RSRC2:TGID_Y_EN: 1
; COMPUTE_PGM_RSRC2:TGID_Z_EN: 1
; COMPUTE_PGM_RSRC2:TIDIG_COMP_CNT: 0
; COMPUTE_PGM_RSRC3_GFX90A:ACCUM_OFFSET: 3
; COMPUTE_PGM_RSRC3_GFX90A:TG_SPLIT: 0
	.section	.text._ZL10tri_kernelIfLb1ELi1EEvPKT_PS0_llllllllllll,"axG",@progbits,_ZL10tri_kernelIfLb1ELi1EEvPKT_PS0_llllllllllll,comdat
	.globl	_ZL10tri_kernelIfLb1ELi1EEvPKT_PS0_llllllllllll ; -- Begin function _ZL10tri_kernelIfLb1ELi1EEvPKT_PS0_llllllllllll
	.p2align	8
	.type	_ZL10tri_kernelIfLb1ELi1EEvPKT_PS0_llllllllllll,@function
_ZL10tri_kernelIfLb1ELi1EEvPKT_PS0_llllllllllll: ; @_ZL10tri_kernelIfLb1ELi1EEvPKT_PS0_llllllllllll
; %bb.0:
	s_load_dwordx8 s[12:19], s[4:5], 0x0
	s_load_dwordx4 s[0:3], s[4:5], 0x20
	s_mov_b32 s9, 0
	s_mov_b32 s20, s7
	;; [unrolled: 1-line block ×3, first 2 shown]
	s_waitcnt lgkmcnt(0)
	v_mov_b32_e32 v2, s18
	v_mov_b32_e32 v4, s0
	;; [unrolled: 1-line block ×6, first 2 shown]
	s_mov_b32 s7, s9
	v_cmp_ge_i64_e32 vcc, s[8:9], v[6:7]
	v_cmp_ge_i64_e64 s[0:1], s[20:21], v[4:5]
	s_or_b64 s[0:1], s[0:1], vcc
	v_cmp_ge_i64_e32 vcc, s[6:7], v[2:3]
	s_or_b64 s[0:1], vcc, s[0:1]
	s_and_b64 vcc, exec, s[0:1]
	s_cbranch_vccnz .LBB1_16
; %bb.1:
	s_load_dwordx4 s[24:27], s[4:5], 0x58
	s_load_dwordx2 s[0:1], s[4:5], 0x68
	v_mov_b32_e32 v1, 0
	v_cmp_ge_u32_e32 vcc, s6, v0
	s_waitcnt lgkmcnt(0)
	s_mul_i32 s3, s6, s25
	s_mul_hi_u32 s9, s6, s24
	s_mul_i32 s10, s20, s27
	s_add_i32 s3, s9, s3
	s_mul_hi_u32 s9, s20, s26
	s_add_i32 s11, s9, s10
	s_mul_i32 s1, s8, s1
	s_mul_hi_u32 s9, s8, s0
	s_mul_i32 s2, s6, s24
	s_mul_i32 s10, s20, s26
	s_add_i32 s19, s9, s1
	s_mul_i32 s18, s8, s0
	s_and_saveexec_b64 s[0:1], vcc
	s_cbranch_execz .LBB1_4
; %bb.2:
	s_load_dword s9, s[4:5], 0x7c
	s_load_dwordx4 s[24:27], s[4:5], 0x38
	s_load_dwordx2 s[28:29], s[4:5], 0x48
	s_lshl_b64 s[22:23], s[18:19], 2
	s_lshl_b64 s[30:31], s[10:11], 2
	s_waitcnt lgkmcnt(0)
	s_and_b32 s21, s9, 0xffff
	s_add_u32 s9, s22, s30
	s_addc_u32 s30, s23, s31
	s_lshl_b64 s[22:23], s[2:3], 2
	s_add_u32 s9, s9, s22
	s_addc_u32 s22, s30, s23
	v_lshlrev_b32_e32 v2, 2, v0
	s_add_u32 s9, s14, s9
	v_add_co_u32_e32 v4, vcc, s9, v2
	s_mul_i32 s9, s29, s8
	s_mul_hi_u32 s23, s28, s8
	s_addc_u32 s22, s15, s22
	s_add_i32 s9, s23, s9
	s_mul_i32 s23, s27, s20
	s_mul_hi_u32 s27, s26, s20
	s_mul_i32 s8, s28, s8
	s_add_i32 s27, s27, s23
	s_mul_i32 s26, s26, s20
	v_mov_b32_e32 v3, s22
	s_lshl_b32 s22, s21, 2
	s_lshl_b64 s[8:9], s[8:9], 2
	s_lshl_b64 s[26:27], s[26:27], 2
	s_add_u32 s20, s8, s26
	s_addc_u32 s23, s9, s27
	s_mul_i32 s8, s25, s6
	s_mul_hi_u32 s9, s24, s6
	s_add_i32 s9, s9, s8
	s_mul_i32 s8, s24, s6
	s_lshl_b64 s[8:9], s[8:9], 2
	s_add_u32 s8, s20, s8
	s_addc_u32 s9, s23, s9
	s_add_u32 s8, s12, s8
	v_addc_co_u32_e32 v5, vcc, 0, v3, vcc
	s_addc_u32 s9, s13, s9
	s_mov_b32 s33, 0
	v_mov_b32_e32 v3, s9
	v_add_co_u32_e32 v6, vcc, s8, v2
	v_addc_co_u32_e32 v7, vcc, 0, v3, vcc
	s_mov_b64 s[8:9], 0
	v_mov_b32_e32 v8, s33
	s_mov_b64 s[12:13], 0
	v_pk_mov_b32 v[2:3], v[0:1], v[0:1] op_sel:[0,1]
.LBB1_3:                                ; =>This Inner Loop Header: Depth=1
	v_mov_b32_e32 v1, s13
	v_add_co_u32_e32 v10, vcc, s12, v6
	v_addc_co_u32_e32 v11, vcc, v7, v1, vcc
	global_load_dword v9, v[10:11], off
	v_add_co_u32_e32 v2, vcc, s21, v2
	v_addc_co_u32_e32 v3, vcc, v3, v8, vcc
	v_add_co_u32_e32 v10, vcc, s12, v4
	s_add_u32 s12, s12, s22
	v_addc_co_u32_e32 v11, vcc, v5, v1, vcc
	s_addc_u32 s13, s13, 0
	v_cmp_lt_u64_e32 vcc, s[6:7], v[2:3]
	s_or_b64 s[8:9], vcc, s[8:9]
	s_waitcnt vmcnt(0)
	global_store_dword v[10:11], v9, off
	s_andn2_b64 exec, exec, s[8:9]
	s_cbranch_execnz .LBB1_3
.LBB1_4:
	s_or_b64 exec, exec, s[0:1]
	s_add_u32 s0, s6, 1
	s_addc_u32 s1, 0, 0
	v_mov_b32_e32 v1, s1
	v_add_co_u32_e32 v2, vcc, s0, v0
	v_addc_co_u32_e32 v3, vcc, 0, v1, vcc
	v_cmp_gt_i64_e32 vcc, s[16:17], v[2:3]
	s_and_saveexec_b64 s[0:1], vcc
	s_cbranch_execz .LBB1_16
; %bb.5:
	s_load_dword s0, s[4:5], 0x7c
	v_mov_b32_e32 v1, s7
	v_add_co_u32_e32 v0, vcc, s6, v0
	v_addc_co_u32_e32 v1, vcc, 0, v1, vcc
	s_waitcnt lgkmcnt(0)
	s_and_b32 s8, s0, 0xffff
	v_add_co_u32_e32 v6, vcc, s8, v0
	v_addc_co_u32_e32 v7, vcc, 0, v1, vcc
	v_add_co_u32_e32 v4, vcc, 1, v6
	v_addc_co_u32_e32 v5, vcc, 0, v7, vcc
	v_mov_b32_e32 v8, s17
	v_cmp_gt_i64_e32 vcc, s[16:17], v[4:5]
	v_cndmask_b32_e32 v5, v5, v8, vcc
	v_mov_b32_e32 v8, s16
	v_cndmask_b32_e32 v4, v4, v8, vcc
	v_add_co_u32_e32 v8, vcc, -1, v4
	v_addc_co_u32_e32 v9, vcc, -1, v5, vcc
	v_cmp_ne_u64_e32 vcc, v[8:9], v[6:7]
	v_cndmask_b32_e64 v4, 0, 1, vcc
	v_add_co_u32_e32 v5, vcc, v6, v4
	v_addc_co_u32_e32 v6, vcc, 0, v7, vcc
	v_sub_co_u32_e32 v5, vcc, v8, v5
	v_subb_co_u32_e32 v7, vcc, v9, v6, vcc
	v_mov_b32_e32 v6, 0
	s_mov_b32 s9, 0
	v_cmp_ne_u64_e32 vcc, 0, v[6:7]
                                        ; implicit-def: $vgpr8_vgpr9
	s_and_saveexec_b64 s[0:1], vcc
	s_xor_b64 s[4:5], exec, s[0:1]
	s_cbranch_execz .LBB1_7
; %bb.6:
	v_cvt_f32_u32_e32 v6, s8
	v_mov_b32_e32 v8, 0x4f800000
	s_sub_u32 s0, 0, s8
	s_subb_u32 s1, 0, 0
	v_mac_f32_e32 v6, 0, v8
	v_rcp_f32_e32 v6, v6
	v_mul_f32_e32 v6, 0x5f7ffffc, v6
	v_mul_f32_e32 v8, 0x2f800000, v6
	v_trunc_f32_e32 v8, v8
	v_madmk_f32 v6, v8, 0xcf800000, v6
	v_cvt_u32_f32_e32 v8, v8
	v_cvt_u32_f32_e32 v6, v6
	v_mul_lo_u32 v9, s0, v8
	v_mul_hi_u32 v11, s0, v6
	v_mul_lo_u32 v10, s1, v6
	v_add_u32_e32 v9, v11, v9
	v_mul_lo_u32 v12, s0, v6
	v_add_u32_e32 v9, v9, v10
	v_mul_hi_u32 v11, v6, v12
	v_mul_lo_u32 v13, v6, v9
	v_mul_hi_u32 v10, v6, v9
	v_add_co_u32_e32 v11, vcc, v11, v13
	v_addc_co_u32_e32 v10, vcc, 0, v10, vcc
	v_mul_hi_u32 v14, v8, v12
	v_mul_lo_u32 v12, v8, v12
	v_add_co_u32_e32 v11, vcc, v11, v12
	v_mul_hi_u32 v13, v8, v9
	v_addc_co_u32_e32 v10, vcc, v10, v14, vcc
	v_addc_co_u32_e32 v11, vcc, 0, v13, vcc
	v_mul_lo_u32 v9, v8, v9
	v_add_co_u32_e32 v9, vcc, v10, v9
	v_addc_co_u32_e32 v10, vcc, 0, v11, vcc
	v_add_co_u32_e32 v6, vcc, v6, v9
	v_addc_co_u32_e32 v8, vcc, v8, v10, vcc
	v_mul_lo_u32 v9, s0, v8
	v_mul_hi_u32 v10, s0, v6
	v_add_u32_e32 v9, v10, v9
	v_mul_lo_u32 v10, s1, v6
	v_add_u32_e32 v9, v9, v10
	v_mul_lo_u32 v11, s0, v6
	v_mul_hi_u32 v12, v8, v11
	v_mul_lo_u32 v13, v8, v11
	v_mul_lo_u32 v15, v6, v9
	v_mul_hi_u32 v11, v6, v11
	v_mul_hi_u32 v14, v6, v9
	v_add_co_u32_e32 v11, vcc, v11, v15
	v_addc_co_u32_e32 v14, vcc, 0, v14, vcc
	v_add_co_u32_e32 v11, vcc, v11, v13
	v_mul_hi_u32 v10, v8, v9
	v_addc_co_u32_e32 v11, vcc, v14, v12, vcc
	v_addc_co_u32_e32 v10, vcc, 0, v10, vcc
	v_mul_lo_u32 v9, v8, v9
	v_add_co_u32_e32 v9, vcc, v11, v9
	v_addc_co_u32_e32 v10, vcc, 0, v10, vcc
	v_add_co_u32_e32 v6, vcc, v6, v9
	v_addc_co_u32_e32 v10, vcc, v8, v10, vcc
	v_mad_u64_u32 v[8:9], s[0:1], v5, v10, 0
	v_mul_hi_u32 v11, v5, v6
	v_add_co_u32_e32 v12, vcc, v11, v8
	v_addc_co_u32_e32 v13, vcc, 0, v9, vcc
	v_mad_u64_u32 v[8:9], s[0:1], v7, v10, 0
	v_mad_u64_u32 v[10:11], s[0:1], v7, v6, 0
	v_add_co_u32_e32 v6, vcc, v12, v10
	v_addc_co_u32_e32 v6, vcc, v13, v11, vcc
	v_addc_co_u32_e32 v9, vcc, 0, v9, vcc
	v_add_co_u32_e32 v12, vcc, v6, v8
	v_addc_co_u32_e32 v13, vcc, 0, v9, vcc
	v_mad_u64_u32 v[8:9], s[0:1], s8, v12, 0
	v_mov_b32_e32 v6, v9
	v_mad_u64_u32 v[10:11], s[0:1], s8, v13, v[6:7]
	v_sub_co_u32_e32 v5, vcc, v5, v8
	v_subb_co_u32_e32 v6, vcc, v7, v10, vcc
	v_subrev_co_u32_e32 v7, vcc, s8, v5
	v_subbrev_co_u32_e32 v8, vcc, 0, v6, vcc
	v_cmp_le_u32_e32 vcc, s8, v7
	v_cndmask_b32_e64 v7, 0, -1, vcc
	v_cmp_eq_u32_e32 vcc, 0, v8
	v_cndmask_b32_e32 v7, -1, v7, vcc
	v_add_co_u32_e32 v8, vcc, 2, v12
	v_addc_co_u32_e32 v9, vcc, 0, v13, vcc
	v_add_co_u32_e32 v10, vcc, 1, v12
	v_cmp_le_u32_e64 s[0:1], s8, v5
	v_addc_co_u32_e32 v11, vcc, 0, v13, vcc
	v_cndmask_b32_e64 v5, 0, -1, s[0:1]
	v_cmp_eq_u32_e64 s[0:1], 0, v6
	v_cmp_ne_u32_e32 vcc, 0, v7
	v_cndmask_b32_e64 v5, -1, v5, s[0:1]
	v_cndmask_b32_e32 v7, v11, v9, vcc
	v_cmp_ne_u32_e64 s[0:1], 0, v5
	v_cndmask_b32_e32 v5, v10, v8, vcc
	v_cndmask_b32_e64 v9, v13, v7, s[0:1]
	v_cndmask_b32_e64 v8, v12, v5, s[0:1]
                                        ; implicit-def: $vgpr5
.LBB1_7:
	s_andn2_saveexec_b64 s[0:1], s[4:5]
	s_cbranch_execz .LBB1_9
; %bb.8:
	v_cvt_f32_u32_e32 v6, s8
	s_sub_i32 s4, 0, s8
	v_mov_b32_e32 v9, 0
	v_rcp_iflag_f32_e32 v6, v6
	v_mul_f32_e32 v6, 0x4f7ffffe, v6
	v_cvt_u32_f32_e32 v6, v6
	v_mul_lo_u32 v7, s4, v6
	v_mul_hi_u32 v7, v6, v7
	v_add_u32_e32 v6, v6, v7
	v_mul_hi_u32 v6, v5, v6
	v_mul_lo_u32 v7, v6, s8
	v_sub_u32_e32 v5, v5, v7
	v_add_u32_e32 v8, 1, v6
	v_subrev_u32_e32 v7, s8, v5
	v_cmp_le_u32_e32 vcc, s8, v5
	v_cndmask_b32_e32 v5, v5, v7, vcc
	v_cndmask_b32_e32 v6, v6, v8, vcc
	v_add_u32_e32 v7, 1, v6
	v_cmp_le_u32_e32 vcc, s8, v5
	v_cndmask_b32_e32 v8, v6, v7, vcc
.LBB1_9:
	s_or_b64 exec, exec, s[0:1]
	v_add_co_u32_e32 v4, vcc, v8, v4
	v_addc_co_u32_e32 v5, vcc, 0, v9, vcc
	v_add_co_u32_e32 v4, vcc, 1, v4
	v_addc_co_u32_e32 v5, vcc, 0, v5, vcc
	v_cmp_lt_u64_e32 vcc, 1, v[4:5]
	v_cmp_eq_u16_e64 s[0:1], s8, 1
	s_and_b64 s[6:7], vcc, s[0:1]
	s_mov_b64 s[0:1], -1
	s_and_saveexec_b64 s[4:5], s[6:7]
	s_cbranch_execz .LBB1_13
; %bb.10:
	s_lshl_b64 s[0:1], s[2:3], 2
	s_add_u32 s6, s14, s0
	s_addc_u32 s7, s15, s1
	s_lshl_b64 s[0:1], s[10:11], 2
	s_add_u32 s6, s6, s0
	s_addc_u32 s7, s7, s1
	;; [unrolled: 3-line block ×3, first 2 shown]
	v_lshlrev_b64 v[0:1], 2, v[0:1]
	v_mov_b32_e32 v8, s1
	v_add_co_u32_e32 v0, vcc, s0, v0
	v_addc_co_u32_e32 v1, vcc, v8, v1, vcc
	v_and_b32_e32 v6, -2, v4
	v_mov_b32_e32 v7, v5
	v_add_co_u32_e32 v0, vcc, 4, v0
	s_mov_b32 s0, 0
	v_mov_b32_e32 v8, 0
	v_addc_co_u32_e32 v1, vcc, 0, v1, vcc
	s_lshl_b32 s12, s8, 3
	s_mov_b64 s[6:7], 0
	v_mov_b32_e32 v9, v8
	v_mov_b32_e32 v12, s0
	v_pk_mov_b32 v[10:11], v[6:7], v[6:7] op_sel:[0,1]
.LBB1_11:                               ; =>This Inner Loop Header: Depth=1
	v_add_co_u32_e32 v10, vcc, -2, v10
	v_addc_co_u32_e32 v11, vcc, -1, v11, vcc
	global_store_dwordx2 v[0:1], v[8:9], off
	v_add_co_u32_e32 v0, vcc, s12, v0
	v_cmp_eq_u64_e64 s[0:1], 0, v[10:11]
	s_or_b64 s[6:7], s[0:1], s[6:7]
	v_addc_co_u32_e32 v1, vcc, v1, v12, vcc
	s_andn2_b64 exec, exec, s[6:7]
	s_cbranch_execnz .LBB1_11
; %bb.12:
	s_or_b64 exec, exec, s[6:7]
	v_mad_u64_u32 v[2:3], s[0:1], v6, s8, v[2:3]
	v_mov_b32_e32 v0, v3
	v_mad_u64_u32 v[0:1], s[0:1], v7, s8, v[0:1]
	v_cmp_ne_u64_e32 vcc, v[4:5], v[6:7]
	v_mov_b32_e32 v3, v0
	s_orn2_b64 s[0:1], vcc, exec
.LBB1_13:
	s_or_b64 exec, exec, s[4:5]
	s_and_b64 exec, exec, s[0:1]
	s_cbranch_execz .LBB1_16
; %bb.14:
	s_lshl_b64 s[0:1], s[18:19], 2
	s_lshl_b64 s[4:5], s[10:11], 2
	s_add_u32 s4, s0, s4
	s_addc_u32 s5, s1, s5
	s_lshl_b64 s[0:1], s[2:3], 2
	s_add_u32 s0, s4, s0
	s_addc_u32 s1, s5, s1
	s_add_u32 s0, s14, s0
	v_lshlrev_b64 v[0:1], 2, v[2:3]
	s_addc_u32 s1, s15, s1
	v_mov_b32_e32 v4, s1
	v_add_co_u32_e32 v0, vcc, s0, v0
	s_mov_b32 s0, 0
	v_addc_co_u32_e32 v1, vcc, v4, v1, vcc
	s_lshl_b32 s4, s8, 2
	s_mov_b64 s[2:3], 0
	v_mov_b32_e32 v4, 0
	v_mov_b32_e32 v5, s9
	;; [unrolled: 1-line block ×3, first 2 shown]
.LBB1_15:                               ; =>This Inner Loop Header: Depth=1
	v_add_co_u32_e32 v2, vcc, s8, v2
	v_addc_co_u32_e32 v3, vcc, v3, v5, vcc
	global_store_dword v[0:1], v4, off
	v_add_co_u32_e32 v0, vcc, s4, v0
	v_cmp_le_i64_e64 s[0:1], s[16:17], v[2:3]
	s_or_b64 s[2:3], s[0:1], s[2:3]
	v_addc_co_u32_e32 v1, vcc, v1, v6, vcc
	s_andn2_b64 exec, exec, s[2:3]
	s_cbranch_execnz .LBB1_15
.LBB1_16:
	s_endpgm
	.section	.rodata,"a",@progbits
	.p2align	6, 0x0
	.amdhsa_kernel _ZL10tri_kernelIfLb1ELi1EEvPKT_PS0_llllllllllll
		.amdhsa_group_segment_fixed_size 0
		.amdhsa_private_segment_fixed_size 0
		.amdhsa_kernarg_size 368
		.amdhsa_user_sgpr_count 6
		.amdhsa_user_sgpr_private_segment_buffer 1
		.amdhsa_user_sgpr_dispatch_ptr 0
		.amdhsa_user_sgpr_queue_ptr 0
		.amdhsa_user_sgpr_kernarg_segment_ptr 1
		.amdhsa_user_sgpr_dispatch_id 0
		.amdhsa_user_sgpr_flat_scratch_init 0
		.amdhsa_user_sgpr_kernarg_preload_length 0
		.amdhsa_user_sgpr_kernarg_preload_offset 0
		.amdhsa_user_sgpr_private_segment_size 0
		.amdhsa_uses_dynamic_stack 0
		.amdhsa_system_sgpr_private_segment_wavefront_offset 0
		.amdhsa_system_sgpr_workgroup_id_x 1
		.amdhsa_system_sgpr_workgroup_id_y 1
		.amdhsa_system_sgpr_workgroup_id_z 1
		.amdhsa_system_sgpr_workgroup_info 0
		.amdhsa_system_vgpr_workitem_id 0
		.amdhsa_next_free_vgpr 16
		.amdhsa_next_free_sgpr 34
		.amdhsa_accum_offset 16
		.amdhsa_reserve_vcc 1
		.amdhsa_reserve_flat_scratch 0
		.amdhsa_float_round_mode_32 0
		.amdhsa_float_round_mode_16_64 0
		.amdhsa_float_denorm_mode_32 3
		.amdhsa_float_denorm_mode_16_64 3
		.amdhsa_dx10_clamp 1
		.amdhsa_ieee_mode 1
		.amdhsa_fp16_overflow 0
		.amdhsa_tg_split 0
		.amdhsa_exception_fp_ieee_invalid_op 0
		.amdhsa_exception_fp_denorm_src 0
		.amdhsa_exception_fp_ieee_div_zero 0
		.amdhsa_exception_fp_ieee_overflow 0
		.amdhsa_exception_fp_ieee_underflow 0
		.amdhsa_exception_fp_ieee_inexact 0
		.amdhsa_exception_int_div_zero 0
	.end_amdhsa_kernel
	.section	.text._ZL10tri_kernelIfLb1ELi1EEvPKT_PS0_llllllllllll,"axG",@progbits,_ZL10tri_kernelIfLb1ELi1EEvPKT_PS0_llllllllllll,comdat
.Lfunc_end1:
	.size	_ZL10tri_kernelIfLb1ELi1EEvPKT_PS0_llllllllllll, .Lfunc_end1-_ZL10tri_kernelIfLb1ELi1EEvPKT_PS0_llllllllllll
                                        ; -- End function
	.section	.AMDGPU.csdata,"",@progbits
; Kernel info:
; codeLenInByte = 1636
; NumSgprs: 38
; NumVgprs: 16
; NumAgprs: 0
; TotalNumVgprs: 16
; ScratchSize: 0
; MemoryBound: 0
; FloatMode: 240
; IeeeMode: 1
; LDSByteSize: 0 bytes/workgroup (compile time only)
; SGPRBlocks: 4
; VGPRBlocks: 1
; NumSGPRsForWavesPerEU: 38
; NumVGPRsForWavesPerEU: 16
; AccumOffset: 16
; Occupancy: 8
; WaveLimiterHint : 0
; COMPUTE_PGM_RSRC2:SCRATCH_EN: 0
; COMPUTE_PGM_RSRC2:USER_SGPR: 6
; COMPUTE_PGM_RSRC2:TRAP_HANDLER: 0
; COMPUTE_PGM_RSRC2:TGID_X_EN: 1
; COMPUTE_PGM_RSRC2:TGID_Y_EN: 1
; COMPUTE_PGM_RSRC2:TGID_Z_EN: 1
; COMPUTE_PGM_RSRC2:TIDIG_COMP_CNT: 0
; COMPUTE_PGM_RSRC3_GFX90A:ACCUM_OFFSET: 3
; COMPUTE_PGM_RSRC3_GFX90A:TG_SPLIT: 0
	.section	.text._ZL10tri_kernelIfLb0ELi0EEvPKT_PS0_llllllllllll,"axG",@progbits,_ZL10tri_kernelIfLb0ELi0EEvPKT_PS0_llllllllllll,comdat
	.globl	_ZL10tri_kernelIfLb0ELi0EEvPKT_PS0_llllllllllll ; -- Begin function _ZL10tri_kernelIfLb0ELi0EEvPKT_PS0_llllllllllll
	.p2align	8
	.type	_ZL10tri_kernelIfLb0ELi0EEvPKT_PS0_llllllllllll,@function
_ZL10tri_kernelIfLb0ELi0EEvPKT_PS0_llllllllllll: ; @_ZL10tri_kernelIfLb0ELi0EEvPKT_PS0_llllllllllll
; %bb.0:
	s_load_dwordx8 s[12:19], s[4:5], 0x0
	s_load_dwordx4 s[0:3], s[4:5], 0x20
	s_mov_b32 s9, 0
	s_mov_b32 s10, s7
	;; [unrolled: 1-line block ×3, first 2 shown]
	s_waitcnt lgkmcnt(0)
	v_mov_b32_e32 v2, s18
	v_mov_b32_e32 v4, s0
	;; [unrolled: 1-line block ×6, first 2 shown]
	s_mov_b32 s7, s9
	v_cmp_ge_i64_e32 vcc, s[8:9], v[6:7]
	v_cmp_ge_i64_e64 s[0:1], s[10:11], v[4:5]
	s_or_b64 s[0:1], s[0:1], vcc
	v_cmp_ge_i64_e32 vcc, s[6:7], v[2:3]
	s_or_b64 s[0:1], vcc, s[0:1]
	s_and_b64 vcc, exec, s[0:1]
	s_cbranch_vccnz .LBB2_16
; %bb.1:
	s_load_dwordx4 s[20:23], s[4:5], 0x58
	s_load_dwordx2 s[0:1], s[4:5], 0x68
	v_mov_b32_e32 v1, 0
	v_pk_mov_b32 v[2:3], v[0:1], v[0:1] op_sel:[0,1]
	v_cmp_gt_u32_e32 vcc, s6, v0
	s_waitcnt lgkmcnt(0)
	s_mul_i32 s2, s10, s23
	s_mul_hi_u32 s3, s10, s22
	s_mul_i32 s1, s8, s1
	s_add_i32 s19, s3, s2
	s_mul_hi_u32 s2, s8, s0
	s_mul_i32 s18, s10, s22
	s_add_i32 s23, s2, s1
	s_mul_i32 s22, s8, s0
	s_and_saveexec_b64 s[2:3], vcc
	s_cbranch_execz .LBB2_13
; %bb.2:
	s_load_dword s0, s[4:5], 0x7c
	v_mov_b32_e32 v4, s7
	s_mov_b32 s11, 0
	s_waitcnt lgkmcnt(0)
	s_and_b32 s9, s0, 0xffff
	v_add_co_u32_e32 v6, vcc, s9, v0
	v_addc_co_u32_e64 v7, s[0:1], 0, 0, vcc
	v_cmp_lt_u64_e32 vcc, s[6:7], v[6:7]
	v_cndmask_b32_e32 v8, v4, v7, vcc
	v_mov_b32_e32 v4, s6
	v_cndmask_b32_e32 v5, v4, v6, vcc
	v_cmp_gt_u64_e32 vcc, s[6:7], v[6:7]
	v_cndmask_b32_e64 v4, 0, 1, vcc
	v_add_co_u32_e32 v6, vcc, v6, v4
	v_addc_co_u32_e32 v7, vcc, 0, v7, vcc
	v_sub_co_u32_e32 v5, vcc, v5, v6
	v_subb_co_u32_e32 v7, vcc, v8, v7, vcc
	v_mov_b32_e32 v6, v1
	v_cmp_ne_u64_e32 vcc, 0, v[6:7]
                                        ; implicit-def: $vgpr8_vgpr9
	s_and_saveexec_b64 s[0:1], vcc
	s_xor_b64 s[24:25], exec, s[0:1]
	s_cbranch_execz .LBB2_4
; %bb.3:
	v_cvt_f32_u32_e32 v6, s9
	v_mov_b32_e32 v8, 0x4f800000
	s_sub_u32 s0, 0, s9
	s_subb_u32 s1, 0, 0
	v_mac_f32_e32 v6, 0, v8
	v_rcp_f32_e32 v6, v6
	v_mul_f32_e32 v6, 0x5f7ffffc, v6
	v_mul_f32_e32 v8, 0x2f800000, v6
	v_trunc_f32_e32 v8, v8
	v_madmk_f32 v6, v8, 0xcf800000, v6
	v_cvt_u32_f32_e32 v8, v8
	v_cvt_u32_f32_e32 v6, v6
	v_mul_lo_u32 v9, s0, v8
	v_mul_hi_u32 v11, s0, v6
	v_mul_lo_u32 v10, s1, v6
	v_add_u32_e32 v9, v11, v9
	v_mul_lo_u32 v12, s0, v6
	v_add_u32_e32 v9, v9, v10
	v_mul_hi_u32 v11, v6, v12
	v_mul_lo_u32 v13, v6, v9
	v_mul_hi_u32 v10, v6, v9
	v_add_co_u32_e32 v11, vcc, v11, v13
	v_addc_co_u32_e32 v10, vcc, 0, v10, vcc
	v_mul_hi_u32 v14, v8, v12
	v_mul_lo_u32 v12, v8, v12
	v_add_co_u32_e32 v11, vcc, v11, v12
	v_mul_hi_u32 v13, v8, v9
	v_addc_co_u32_e32 v10, vcc, v10, v14, vcc
	v_addc_co_u32_e32 v11, vcc, 0, v13, vcc
	v_mul_lo_u32 v9, v8, v9
	v_add_co_u32_e32 v9, vcc, v10, v9
	v_addc_co_u32_e32 v10, vcc, 0, v11, vcc
	v_add_co_u32_e32 v6, vcc, v6, v9
	v_addc_co_u32_e32 v8, vcc, v8, v10, vcc
	v_mul_lo_u32 v9, s0, v8
	v_mul_hi_u32 v10, s0, v6
	v_add_u32_e32 v9, v10, v9
	v_mul_lo_u32 v10, s1, v6
	v_add_u32_e32 v9, v9, v10
	v_mul_lo_u32 v11, s0, v6
	v_mul_hi_u32 v12, v8, v11
	v_mul_lo_u32 v13, v8, v11
	v_mul_lo_u32 v15, v6, v9
	v_mul_hi_u32 v11, v6, v11
	v_mul_hi_u32 v14, v6, v9
	v_add_co_u32_e32 v11, vcc, v11, v15
	v_addc_co_u32_e32 v14, vcc, 0, v14, vcc
	v_add_co_u32_e32 v11, vcc, v11, v13
	v_mul_hi_u32 v10, v8, v9
	v_addc_co_u32_e32 v11, vcc, v14, v12, vcc
	v_addc_co_u32_e32 v10, vcc, 0, v10, vcc
	v_mul_lo_u32 v9, v8, v9
	v_add_co_u32_e32 v9, vcc, v11, v9
	v_addc_co_u32_e32 v10, vcc, 0, v10, vcc
	v_add_co_u32_e32 v6, vcc, v6, v9
	v_addc_co_u32_e32 v10, vcc, v8, v10, vcc
	v_mad_u64_u32 v[8:9], s[0:1], v5, v10, 0
	v_mul_hi_u32 v11, v5, v6
	v_add_co_u32_e32 v12, vcc, v11, v8
	v_addc_co_u32_e32 v13, vcc, 0, v9, vcc
	v_mad_u64_u32 v[8:9], s[0:1], v7, v10, 0
	v_mad_u64_u32 v[10:11], s[0:1], v7, v6, 0
	v_add_co_u32_e32 v6, vcc, v12, v10
	v_addc_co_u32_e32 v6, vcc, v13, v11, vcc
	v_addc_co_u32_e32 v9, vcc, 0, v9, vcc
	v_add_co_u32_e32 v12, vcc, v6, v8
	v_addc_co_u32_e32 v13, vcc, 0, v9, vcc
	v_mad_u64_u32 v[8:9], s[0:1], s9, v12, 0
	v_mov_b32_e32 v6, v9
	v_mad_u64_u32 v[10:11], s[0:1], s9, v13, v[6:7]
	v_sub_co_u32_e32 v5, vcc, v5, v8
	v_subb_co_u32_e32 v6, vcc, v7, v10, vcc
	v_subrev_co_u32_e32 v7, vcc, s9, v5
	v_subbrev_co_u32_e32 v8, vcc, 0, v6, vcc
	v_cmp_le_u32_e32 vcc, s9, v7
	v_cndmask_b32_e64 v7, 0, -1, vcc
	v_cmp_eq_u32_e32 vcc, 0, v8
	v_cndmask_b32_e32 v7, -1, v7, vcc
	v_add_co_u32_e32 v8, vcc, 2, v12
	v_addc_co_u32_e32 v9, vcc, 0, v13, vcc
	v_add_co_u32_e32 v10, vcc, 1, v12
	v_cmp_le_u32_e64 s[0:1], s9, v5
	v_addc_co_u32_e32 v11, vcc, 0, v13, vcc
	v_cndmask_b32_e64 v5, 0, -1, s[0:1]
	v_cmp_eq_u32_e64 s[0:1], 0, v6
	v_cmp_ne_u32_e32 vcc, 0, v7
	v_cndmask_b32_e64 v5, -1, v5, s[0:1]
	v_cndmask_b32_e32 v7, v11, v9, vcc
	v_cmp_ne_u32_e64 s[0:1], 0, v5
	v_cndmask_b32_e32 v5, v10, v8, vcc
	v_cndmask_b32_e64 v9, v13, v7, s[0:1]
	v_cndmask_b32_e64 v8, v12, v5, s[0:1]
                                        ; implicit-def: $vgpr5
.LBB2_4:
	s_andn2_saveexec_b64 s[0:1], s[24:25]
	s_cbranch_execz .LBB2_6
; %bb.5:
	v_cvt_f32_u32_e32 v6, s9
	s_sub_i32 s24, 0, s9
	v_mov_b32_e32 v9, 0
	v_rcp_iflag_f32_e32 v6, v6
	v_mul_f32_e32 v6, 0x4f7ffffe, v6
	v_cvt_u32_f32_e32 v6, v6
	v_mul_lo_u32 v7, s24, v6
	v_mul_hi_u32 v7, v6, v7
	v_add_u32_e32 v6, v6, v7
	v_mul_hi_u32 v6, v5, v6
	v_mul_lo_u32 v7, v6, s9
	v_sub_u32_e32 v5, v5, v7
	v_add_u32_e32 v8, 1, v6
	v_subrev_u32_e32 v7, s9, v5
	v_cmp_le_u32_e32 vcc, s9, v5
	v_cndmask_b32_e32 v5, v5, v7, vcc
	v_cndmask_b32_e32 v6, v6, v8, vcc
	v_add_u32_e32 v7, 1, v6
	v_cmp_le_u32_e32 vcc, s9, v5
	v_cndmask_b32_e32 v8, v6, v7, vcc
.LBB2_6:
	s_or_b64 exec, exec, s[0:1]
	v_add_co_u32_e32 v4, vcc, v8, v4
	v_addc_co_u32_e32 v5, vcc, 0, v9, vcc
	v_add_co_u32_e32 v6, vcc, 1, v4
	s_mul_i32 s0, s6, s21
	s_mul_hi_u32 s1, s6, s20
	v_addc_co_u32_e32 v7, vcc, 0, v5, vcc
	s_add_i32 s25, s1, s0
	v_cmp_lt_u64_e32 vcc, 15, v[6:7]
	v_cmp_eq_u16_e64 s[0:1], s9, 1
	s_mul_i32 s24, s6, s20
	s_and_b64 s[28:29], vcc, s[0:1]
	s_mov_b64 s[0:1], -1
	s_and_saveexec_b64 s[26:27], s[28:29]
	s_cbranch_execz .LBB2_10
; %bb.7:
	s_lshl_b64 s[0:1], s[24:25], 2
	s_add_u32 s28, s14, s0
	s_addc_u32 s29, s15, s1
	s_lshl_b64 s[0:1], s[18:19], 2
	s_add_u32 s28, s28, s0
	s_addc_u32 s29, s29, s1
	;; [unrolled: 3-line block ×3, first 2 shown]
	v_lshlrev_b32_e32 v2, 2, v0
	s_mov_b32 s31, 0
	v_mov_b32_e32 v3, s1
	v_add_co_u32_e32 v10, vcc, s0, v2
	s_mov_b32 s36, s31
	s_mov_b32 s37, s31
	v_and_b32_e32 v8, -16, v6
	v_mov_b32_e32 v9, v7
	v_addc_co_u32_e32 v11, vcc, 0, v3, vcc
	s_mov_b32 s38, s31
	s_mov_b32 s39, s31
	v_pk_mov_b32 v[2:3], s[36:37], s[36:37] op_sel:[0,1]
	s_lshl_b32 s30, s9, 6
	s_mov_b64 s[28:29], 0
	v_pk_mov_b32 v[4:5], s[38:39], s[38:39] op_sel:[0,1]
	v_mov_b32_e32 v14, s31
	v_pk_mov_b32 v[12:13], v[8:9], v[8:9] op_sel:[0,1]
.LBB2_8:                                ; =>This Inner Loop Header: Depth=1
	v_add_co_u32_e32 v12, vcc, -16, v12
	v_addc_co_u32_e32 v13, vcc, -1, v13, vcc
	global_store_dwordx4 v[10:11], v[2:5], off
	global_store_dwordx4 v[10:11], v[2:5], off offset:16
	global_store_dwordx4 v[10:11], v[2:5], off offset:32
	;; [unrolled: 1-line block ×3, first 2 shown]
	v_add_co_u32_e32 v10, vcc, s30, v10
	v_cmp_eq_u64_e64 s[0:1], 0, v[12:13]
	s_or_b64 s[28:29], s[0:1], s[28:29]
	v_addc_co_u32_e32 v11, vcc, v11, v14, vcc
	s_andn2_b64 exec, exec, s[28:29]
	s_cbranch_execnz .LBB2_8
; %bb.9:
	s_or_b64 exec, exec, s[28:29]
	v_mad_u64_u32 v[2:3], s[0:1], v8, s9, v[0:1]
	v_mov_b32_e32 v4, v3
                                        ; kill: def $vgpr1 killed $sgpr0 killed $exec
	v_mad_u64_u32 v[4:5], s[0:1], v9, s9, v[4:5]
	v_cmp_ne_u64_e32 vcc, v[6:7], v[8:9]
	v_mov_b32_e32 v3, v4
	s_orn2_b64 s[0:1], vcc, exec
.LBB2_10:
	s_or_b64 exec, exec, s[26:27]
	s_and_b64 exec, exec, s[0:1]
	s_cbranch_execz .LBB2_13
; %bb.11:
	s_lshl_b64 s[0:1], s[22:23], 2
	s_lshl_b64 s[26:27], s[18:19], 2
	s_add_u32 s26, s0, s26
	s_addc_u32 s27, s1, s27
	s_lshl_b64 s[0:1], s[24:25], 2
	s_add_u32 s0, s26, s0
	s_addc_u32 s1, s27, s1
	s_add_u32 s0, s14, s0
	v_lshlrev_b64 v[4:5], 2, v[2:3]
	s_addc_u32 s1, s15, s1
	v_mov_b32_e32 v1, s1
	v_add_co_u32_e32 v4, vcc, s0, v4
	s_mov_b32 s0, 0
	v_addc_co_u32_e32 v5, vcc, v1, v5, vcc
	s_lshl_b32 s26, s9, 2
	s_mov_b64 s[24:25], 0
	v_mov_b32_e32 v1, 0
	v_mov_b32_e32 v6, s11
	;; [unrolled: 1-line block ×3, first 2 shown]
.LBB2_12:                               ; =>This Inner Loop Header: Depth=1
	v_add_co_u32_e32 v2, vcc, s9, v2
	v_addc_co_u32_e32 v3, vcc, v3, v6, vcc
	global_store_dword v[4:5], v1, off
	v_add_co_u32_e32 v4, vcc, s26, v4
	v_cmp_le_u64_e64 s[0:1], s[6:7], v[2:3]
	s_or_b64 s[24:25], s[0:1], s[24:25]
	v_addc_co_u32_e32 v5, vcc, v5, v7, vcc
	s_andn2_b64 exec, exec, s[24:25]
	s_cbranch_execnz .LBB2_12
.LBB2_13:
	s_or_b64 exec, exec, s[2:3]
	v_mov_b32_e32 v1, s7
	v_add_co_u32_e32 v2, vcc, s6, v0
	v_addc_co_u32_e32 v3, vcc, 0, v1, vcc
	v_cmp_gt_i64_e32 vcc, s[16:17], v[2:3]
	s_and_saveexec_b64 s[0:1], vcc
	s_cbranch_execz .LBB2_16
; %bb.14:
	s_load_dword s7, s[4:5], 0x7c
	s_load_dwordx4 s[0:3], s[4:5], 0x38
	s_load_dwordx2 s[24:25], s[4:5], 0x48
	s_lshl_b64 s[22:23], s[22:23], 2
	s_lshl_b64 s[18:19], s[18:19], 2
	s_waitcnt lgkmcnt(0)
	s_and_b32 s4, s7, 0xffff
	s_add_u32 s5, s22, s18
	s_addc_u32 s7, s23, s19
	s_lshl_b64 s[18:19], s[20:21], 2
	s_add_u32 s9, s18, 4
	s_addc_u32 s18, s19, 0
	s_mul_i32 s18, s18, s6
	s_mul_hi_u32 s19, s9, s6
	s_add_i32 s19, s19, s18
	s_mul_i32 s9, s9, s6
	s_add_u32 s5, s5, s9
	s_addc_u32 s7, s7, s19
	s_add_u32 s5, s14, s5
	s_addc_u32 s7, s15, s7
	v_mov_b32_e32 v1, s7
	s_mul_i32 s7, s25, s8
	s_mul_hi_u32 s9, s24, s8
	s_add_i32 s9, s9, s7
	s_mul_i32 s3, s3, s10
	s_mul_hi_u32 s7, s2, s10
	v_lshlrev_b32_e32 v4, 2, v0
	s_mul_i32 s8, s24, s8
	s_add_i32 s3, s7, s3
	s_mul_i32 s2, s2, s10
	v_add_co_u32_e32 v0, vcc, s5, v4
	s_lshl_b32 s5, s4, 2
	s_lshl_b64 s[8:9], s[8:9], 2
	s_lshl_b64 s[2:3], s[2:3], 2
	s_add_u32 s2, s8, s2
	s_addc_u32 s3, s9, s3
	s_lshl_b64 s[0:1], s[0:1], 2
	s_add_u32 s0, s0, 4
	s_addc_u32 s1, s1, 0
	s_mul_i32 s1, s1, s6
	s_mul_hi_u32 s7, s0, s6
	s_add_i32 s7, s7, s1
	s_mul_i32 s0, s0, s6
	s_add_u32 s0, s2, s0
	s_addc_u32 s1, s3, s7
	s_add_u32 s0, s12, s0
	v_addc_co_u32_e32 v1, vcc, 0, v1, vcc
	s_addc_u32 s1, s13, s1
	s_mov_b32 s11, 0
	v_mov_b32_e32 v5, s1
	v_add_co_u32_e32 v4, vcc, s0, v4
	v_addc_co_u32_e32 v5, vcc, 0, v5, vcc
	s_mov_b64 s[0:1], 0
	v_mov_b32_e32 v6, s11
	s_mov_b64 s[2:3], 0
.LBB2_15:                               ; =>This Inner Loop Header: Depth=1
	v_mov_b32_e32 v7, s3
	v_add_co_u32_e32 v8, vcc, s2, v4
	v_addc_co_u32_e32 v9, vcc, v5, v7, vcc
	global_load_dword v10, v[8:9], off
	v_add_co_u32_e32 v2, vcc, s4, v2
	v_addc_co_u32_e32 v3, vcc, v3, v6, vcc
	v_add_co_u32_e32 v8, vcc, s2, v0
	s_add_u32 s2, s2, s5
	v_addc_co_u32_e32 v9, vcc, v1, v7, vcc
	s_addc_u32 s3, s3, 0
	v_cmp_le_i64_e32 vcc, s[16:17], v[2:3]
	s_or_b64 s[0:1], vcc, s[0:1]
	s_waitcnt vmcnt(0)
	global_store_dword v[8:9], v10, off
	s_andn2_b64 exec, exec, s[0:1]
	s_cbranch_execnz .LBB2_15
.LBB2_16:
	s_endpgm
	.section	.rodata,"a",@progbits
	.p2align	6, 0x0
	.amdhsa_kernel _ZL10tri_kernelIfLb0ELi0EEvPKT_PS0_llllllllllll
		.amdhsa_group_segment_fixed_size 0
		.amdhsa_private_segment_fixed_size 0
		.amdhsa_kernarg_size 368
		.amdhsa_user_sgpr_count 6
		.amdhsa_user_sgpr_private_segment_buffer 1
		.amdhsa_user_sgpr_dispatch_ptr 0
		.amdhsa_user_sgpr_queue_ptr 0
		.amdhsa_user_sgpr_kernarg_segment_ptr 1
		.amdhsa_user_sgpr_dispatch_id 0
		.amdhsa_user_sgpr_flat_scratch_init 0
		.amdhsa_user_sgpr_kernarg_preload_length 0
		.amdhsa_user_sgpr_kernarg_preload_offset 0
		.amdhsa_user_sgpr_private_segment_size 0
		.amdhsa_uses_dynamic_stack 0
		.amdhsa_system_sgpr_private_segment_wavefront_offset 0
		.amdhsa_system_sgpr_workgroup_id_x 1
		.amdhsa_system_sgpr_workgroup_id_y 1
		.amdhsa_system_sgpr_workgroup_id_z 1
		.amdhsa_system_sgpr_workgroup_info 0
		.amdhsa_system_vgpr_workitem_id 0
		.amdhsa_next_free_vgpr 16
		.amdhsa_next_free_sgpr 40
		.amdhsa_accum_offset 16
		.amdhsa_reserve_vcc 1
		.amdhsa_reserve_flat_scratch 0
		.amdhsa_float_round_mode_32 0
		.amdhsa_float_round_mode_16_64 0
		.amdhsa_float_denorm_mode_32 3
		.amdhsa_float_denorm_mode_16_64 3
		.amdhsa_dx10_clamp 1
		.amdhsa_ieee_mode 1
		.amdhsa_fp16_overflow 0
		.amdhsa_tg_split 0
		.amdhsa_exception_fp_ieee_invalid_op 0
		.amdhsa_exception_fp_denorm_src 0
		.amdhsa_exception_fp_ieee_div_zero 0
		.amdhsa_exception_fp_ieee_overflow 0
		.amdhsa_exception_fp_ieee_underflow 0
		.amdhsa_exception_fp_ieee_inexact 0
		.amdhsa_exception_int_div_zero 0
	.end_amdhsa_kernel
	.section	.text._ZL10tri_kernelIfLb0ELi0EEvPKT_PS0_llllllllllll,"axG",@progbits,_ZL10tri_kernelIfLb0ELi0EEvPKT_PS0_llllllllllll,comdat
.Lfunc_end2:
	.size	_ZL10tri_kernelIfLb0ELi0EEvPKT_PS0_llllllllllll, .Lfunc_end2-_ZL10tri_kernelIfLb0ELi0EEvPKT_PS0_llllllllllll
                                        ; -- End function
	.section	.AMDGPU.csdata,"",@progbits
; Kernel info:
; codeLenInByte = 1672
; NumSgprs: 44
; NumVgprs: 16
; NumAgprs: 0
; TotalNumVgprs: 16
; ScratchSize: 0
; MemoryBound: 0
; FloatMode: 240
; IeeeMode: 1
; LDSByteSize: 0 bytes/workgroup (compile time only)
; SGPRBlocks: 5
; VGPRBlocks: 1
; NumSGPRsForWavesPerEU: 44
; NumVGPRsForWavesPerEU: 16
; AccumOffset: 16
; Occupancy: 8
; WaveLimiterHint : 0
; COMPUTE_PGM_RSRC2:SCRATCH_EN: 0
; COMPUTE_PGM_RSRC2:USER_SGPR: 6
; COMPUTE_PGM_RSRC2:TRAP_HANDLER: 0
; COMPUTE_PGM_RSRC2:TGID_X_EN: 1
; COMPUTE_PGM_RSRC2:TGID_Y_EN: 1
; COMPUTE_PGM_RSRC2:TGID_Z_EN: 1
; COMPUTE_PGM_RSRC2:TIDIG_COMP_CNT: 0
; COMPUTE_PGM_RSRC3_GFX90A:ACCUM_OFFSET: 3
; COMPUTE_PGM_RSRC3_GFX90A:TG_SPLIT: 0
	.section	.text._ZL10tri_kernelIfLb0ELi1EEvPKT_PS0_llllllllllll,"axG",@progbits,_ZL10tri_kernelIfLb0ELi1EEvPKT_PS0_llllllllllll,comdat
	.globl	_ZL10tri_kernelIfLb0ELi1EEvPKT_PS0_llllllllllll ; -- Begin function _ZL10tri_kernelIfLb0ELi1EEvPKT_PS0_llllllllllll
	.p2align	8
	.type	_ZL10tri_kernelIfLb0ELi1EEvPKT_PS0_llllllllllll,@function
_ZL10tri_kernelIfLb0ELi1EEvPKT_PS0_llllllllllll: ; @_ZL10tri_kernelIfLb0ELi1EEvPKT_PS0_llllllllllll
; %bb.0:
	s_load_dwordx8 s[12:19], s[4:5], 0x0
	s_load_dwordx4 s[0:3], s[4:5], 0x20
	s_mov_b32 s9, 0
	s_mov_b32 s10, s7
	;; [unrolled: 1-line block ×3, first 2 shown]
	s_waitcnt lgkmcnt(0)
	v_mov_b32_e32 v2, s18
	v_mov_b32_e32 v4, s0
	v_mov_b32_e32 v5, s1
	v_mov_b32_e32 v6, s2
	v_mov_b32_e32 v7, s3
	v_mov_b32_e32 v3, s19
	s_mov_b32 s7, s9
	v_cmp_ge_i64_e32 vcc, s[8:9], v[6:7]
	v_cmp_ge_i64_e64 s[0:1], s[10:11], v[4:5]
	s_or_b64 s[0:1], s[0:1], vcc
	v_cmp_ge_i64_e32 vcc, s[6:7], v[2:3]
	s_or_b64 s[0:1], vcc, s[0:1]
	s_and_b64 vcc, exec, s[0:1]
	s_cbranch_vccnz .LBB3_16
; %bb.1:
	s_load_dwordx4 s[20:23], s[4:5], 0x58
	s_load_dwordx2 s[0:1], s[4:5], 0x68
	s_add_u32 s2, s6, 1
	s_addc_u32 s3, 0, 0
	v_mov_b32_e32 v1, 0
	s_waitcnt lgkmcnt(0)
	s_mul_i32 s9, s10, s23
	s_mul_hi_u32 s11, s10, s22
	s_add_i32 s19, s11, s9
	s_mul_i32 s1, s8, s1
	s_mul_hi_u32 s9, s8, s0
	s_mul_i32 s18, s10, s22
	s_add_i32 s23, s9, s1
	s_mul_i32 s22, s8, s0
	v_pk_mov_b32 v[2:3], v[0:1], v[0:1] op_sel:[0,1]
	v_cmp_ge_u32_e32 vcc, s6, v0
	s_and_saveexec_b64 s[24:25], vcc
	s_cbranch_execz .LBB3_13
; %bb.2:
	s_load_dword s0, s[4:5], 0x7c
	v_mov_b32_e32 v4, s3
	s_mov_b32 s11, 0
	s_waitcnt lgkmcnt(0)
	s_and_b32 s9, s0, 0xffff
	v_add_co_u32_e32 v6, vcc, s9, v0
	v_addc_co_u32_e64 v7, s[0:1], 0, 0, vcc
	v_cmp_lt_u64_e32 vcc, s[2:3], v[6:7]
	v_cndmask_b32_e32 v8, v4, v7, vcc
	v_mov_b32_e32 v4, s2
	v_cndmask_b32_e32 v5, v4, v6, vcc
	v_cmp_ge_u64_e32 vcc, s[6:7], v[6:7]
	v_cndmask_b32_e64 v4, 0, 1, vcc
	v_add_co_u32_e32 v6, vcc, v6, v4
	v_addc_co_u32_e32 v7, vcc, 0, v7, vcc
	v_sub_co_u32_e32 v5, vcc, v5, v6
	v_subb_co_u32_e32 v7, vcc, v8, v7, vcc
	v_mov_b32_e32 v6, v1
	v_cmp_ne_u64_e32 vcc, 0, v[6:7]
                                        ; implicit-def: $vgpr8_vgpr9
	s_and_saveexec_b64 s[0:1], vcc
	s_xor_b64 s[26:27], exec, s[0:1]
	s_cbranch_execz .LBB3_4
; %bb.3:
	v_cvt_f32_u32_e32 v6, s9
	v_mov_b32_e32 v8, 0x4f800000
	s_sub_u32 s0, 0, s9
	s_subb_u32 s1, 0, 0
	v_mac_f32_e32 v6, 0, v8
	v_rcp_f32_e32 v6, v6
	v_mul_f32_e32 v6, 0x5f7ffffc, v6
	v_mul_f32_e32 v8, 0x2f800000, v6
	v_trunc_f32_e32 v8, v8
	v_madmk_f32 v6, v8, 0xcf800000, v6
	v_cvt_u32_f32_e32 v8, v8
	v_cvt_u32_f32_e32 v6, v6
	v_mul_lo_u32 v9, s0, v8
	v_mul_hi_u32 v11, s0, v6
	v_mul_lo_u32 v10, s1, v6
	v_add_u32_e32 v9, v11, v9
	v_mul_lo_u32 v12, s0, v6
	v_add_u32_e32 v9, v9, v10
	v_mul_hi_u32 v11, v6, v12
	v_mul_lo_u32 v13, v6, v9
	v_mul_hi_u32 v10, v6, v9
	v_add_co_u32_e32 v11, vcc, v11, v13
	v_addc_co_u32_e32 v10, vcc, 0, v10, vcc
	v_mul_hi_u32 v14, v8, v12
	v_mul_lo_u32 v12, v8, v12
	v_add_co_u32_e32 v11, vcc, v11, v12
	v_mul_hi_u32 v13, v8, v9
	v_addc_co_u32_e32 v10, vcc, v10, v14, vcc
	v_addc_co_u32_e32 v11, vcc, 0, v13, vcc
	v_mul_lo_u32 v9, v8, v9
	v_add_co_u32_e32 v9, vcc, v10, v9
	v_addc_co_u32_e32 v10, vcc, 0, v11, vcc
	v_add_co_u32_e32 v6, vcc, v6, v9
	v_addc_co_u32_e32 v8, vcc, v8, v10, vcc
	v_mul_lo_u32 v9, s0, v8
	v_mul_hi_u32 v10, s0, v6
	v_add_u32_e32 v9, v10, v9
	v_mul_lo_u32 v10, s1, v6
	v_add_u32_e32 v9, v9, v10
	v_mul_lo_u32 v11, s0, v6
	v_mul_hi_u32 v12, v8, v11
	v_mul_lo_u32 v13, v8, v11
	v_mul_lo_u32 v15, v6, v9
	v_mul_hi_u32 v11, v6, v11
	v_mul_hi_u32 v14, v6, v9
	v_add_co_u32_e32 v11, vcc, v11, v15
	v_addc_co_u32_e32 v14, vcc, 0, v14, vcc
	v_add_co_u32_e32 v11, vcc, v11, v13
	v_mul_hi_u32 v10, v8, v9
	v_addc_co_u32_e32 v11, vcc, v14, v12, vcc
	v_addc_co_u32_e32 v10, vcc, 0, v10, vcc
	v_mul_lo_u32 v9, v8, v9
	v_add_co_u32_e32 v9, vcc, v11, v9
	v_addc_co_u32_e32 v10, vcc, 0, v10, vcc
	v_add_co_u32_e32 v6, vcc, v6, v9
	v_addc_co_u32_e32 v10, vcc, v8, v10, vcc
	v_mad_u64_u32 v[8:9], s[0:1], v5, v10, 0
	v_mul_hi_u32 v11, v5, v6
	v_add_co_u32_e32 v12, vcc, v11, v8
	v_addc_co_u32_e32 v13, vcc, 0, v9, vcc
	v_mad_u64_u32 v[8:9], s[0:1], v7, v10, 0
	v_mad_u64_u32 v[10:11], s[0:1], v7, v6, 0
	v_add_co_u32_e32 v6, vcc, v12, v10
	v_addc_co_u32_e32 v6, vcc, v13, v11, vcc
	v_addc_co_u32_e32 v9, vcc, 0, v9, vcc
	v_add_co_u32_e32 v12, vcc, v6, v8
	v_addc_co_u32_e32 v13, vcc, 0, v9, vcc
	v_mad_u64_u32 v[8:9], s[0:1], s9, v12, 0
	v_mov_b32_e32 v6, v9
	v_mad_u64_u32 v[10:11], s[0:1], s9, v13, v[6:7]
	v_sub_co_u32_e32 v5, vcc, v5, v8
	v_subb_co_u32_e32 v6, vcc, v7, v10, vcc
	v_subrev_co_u32_e32 v7, vcc, s9, v5
	v_subbrev_co_u32_e32 v8, vcc, 0, v6, vcc
	v_cmp_le_u32_e32 vcc, s9, v7
	v_cndmask_b32_e64 v7, 0, -1, vcc
	v_cmp_eq_u32_e32 vcc, 0, v8
	v_cndmask_b32_e32 v7, -1, v7, vcc
	v_add_co_u32_e32 v8, vcc, 2, v12
	v_addc_co_u32_e32 v9, vcc, 0, v13, vcc
	v_add_co_u32_e32 v10, vcc, 1, v12
	v_cmp_le_u32_e64 s[0:1], s9, v5
	v_addc_co_u32_e32 v11, vcc, 0, v13, vcc
	v_cndmask_b32_e64 v5, 0, -1, s[0:1]
	v_cmp_eq_u32_e64 s[0:1], 0, v6
	v_cmp_ne_u32_e32 vcc, 0, v7
	v_cndmask_b32_e64 v5, -1, v5, s[0:1]
	v_cndmask_b32_e32 v7, v11, v9, vcc
	v_cmp_ne_u32_e64 s[0:1], 0, v5
	v_cndmask_b32_e32 v5, v10, v8, vcc
	v_cndmask_b32_e64 v9, v13, v7, s[0:1]
	v_cndmask_b32_e64 v8, v12, v5, s[0:1]
                                        ; implicit-def: $vgpr5
.LBB3_4:
	s_andn2_saveexec_b64 s[0:1], s[26:27]
	s_cbranch_execz .LBB3_6
; %bb.5:
	v_cvt_f32_u32_e32 v6, s9
	s_sub_i32 s26, 0, s9
	v_mov_b32_e32 v9, 0
	v_rcp_iflag_f32_e32 v6, v6
	v_mul_f32_e32 v6, 0x4f7ffffe, v6
	v_cvt_u32_f32_e32 v6, v6
	v_mul_lo_u32 v7, s26, v6
	v_mul_hi_u32 v7, v6, v7
	v_add_u32_e32 v6, v6, v7
	v_mul_hi_u32 v6, v5, v6
	v_mul_lo_u32 v7, v6, s9
	v_sub_u32_e32 v5, v5, v7
	v_add_u32_e32 v8, 1, v6
	v_subrev_u32_e32 v7, s9, v5
	v_cmp_le_u32_e32 vcc, s9, v5
	v_cndmask_b32_e32 v5, v5, v7, vcc
	v_cndmask_b32_e32 v6, v6, v8, vcc
	v_add_u32_e32 v7, 1, v6
	v_cmp_le_u32_e32 vcc, s9, v5
	v_cndmask_b32_e32 v8, v6, v7, vcc
.LBB3_6:
	s_or_b64 exec, exec, s[0:1]
	v_add_co_u32_e32 v4, vcc, v8, v4
	v_addc_co_u32_e32 v5, vcc, 0, v9, vcc
	v_add_co_u32_e32 v6, vcc, 1, v4
	s_mul_i32 s0, s6, s21
	s_mul_hi_u32 s1, s6, s20
	v_addc_co_u32_e32 v7, vcc, 0, v5, vcc
	s_add_i32 s27, s1, s0
	v_cmp_lt_u64_e32 vcc, 15, v[6:7]
	v_cmp_eq_u16_e64 s[0:1], s9, 1
	s_mul_i32 s26, s6, s20
	s_and_b64 s[30:31], vcc, s[0:1]
	s_mov_b64 s[0:1], -1
	s_and_saveexec_b64 s[28:29], s[30:31]
	s_cbranch_execz .LBB3_10
; %bb.7:
	s_lshl_b64 s[0:1], s[26:27], 2
	s_add_u32 s30, s14, s0
	s_addc_u32 s31, s15, s1
	s_lshl_b64 s[0:1], s[18:19], 2
	s_add_u32 s30, s30, s0
	s_addc_u32 s31, s31, s1
	s_lshl_b64 s[0:1], s[22:23], 2
	s_add_u32 s0, s30, s0
	s_addc_u32 s1, s31, s1
	v_lshlrev_b32_e32 v2, 2, v0
	s_mov_b32 s34, 0
	v_mov_b32_e32 v3, s1
	v_add_co_u32_e32 v10, vcc, s0, v2
	s_mov_b32 s36, s34
	s_mov_b32 s37, s34
	v_and_b32_e32 v8, -16, v6
	v_mov_b32_e32 v9, v7
	v_addc_co_u32_e32 v11, vcc, 0, v3, vcc
	s_mov_b32 s38, s34
	s_mov_b32 s39, s34
	v_pk_mov_b32 v[2:3], s[36:37], s[36:37] op_sel:[0,1]
	s_lshl_b32 s33, s9, 6
	s_mov_b64 s[30:31], 0
	v_pk_mov_b32 v[4:5], s[38:39], s[38:39] op_sel:[0,1]
	v_mov_b32_e32 v14, s34
	v_pk_mov_b32 v[12:13], v[8:9], v[8:9] op_sel:[0,1]
.LBB3_8:                                ; =>This Inner Loop Header: Depth=1
	v_add_co_u32_e32 v12, vcc, -16, v12
	v_addc_co_u32_e32 v13, vcc, -1, v13, vcc
	global_store_dwordx4 v[10:11], v[2:5], off
	global_store_dwordx4 v[10:11], v[2:5], off offset:16
	global_store_dwordx4 v[10:11], v[2:5], off offset:32
	;; [unrolled: 1-line block ×3, first 2 shown]
	v_add_co_u32_e32 v10, vcc, s33, v10
	v_cmp_eq_u64_e64 s[0:1], 0, v[12:13]
	s_or_b64 s[30:31], s[0:1], s[30:31]
	v_addc_co_u32_e32 v11, vcc, v11, v14, vcc
	s_andn2_b64 exec, exec, s[30:31]
	s_cbranch_execnz .LBB3_8
; %bb.9:
	s_or_b64 exec, exec, s[30:31]
	v_mad_u64_u32 v[2:3], s[0:1], v8, s9, v[0:1]
	v_mov_b32_e32 v4, v3
                                        ; kill: def $vgpr1 killed $sgpr0 killed $exec
	v_mad_u64_u32 v[4:5], s[0:1], v9, s9, v[4:5]
	v_cmp_ne_u64_e32 vcc, v[6:7], v[8:9]
	v_mov_b32_e32 v3, v4
	s_orn2_b64 s[0:1], vcc, exec
.LBB3_10:
	s_or_b64 exec, exec, s[28:29]
	s_and_b64 exec, exec, s[0:1]
	s_cbranch_execz .LBB3_13
; %bb.11:
	s_lshl_b64 s[0:1], s[22:23], 2
	s_lshl_b64 s[28:29], s[18:19], 2
	s_add_u32 s28, s0, s28
	s_addc_u32 s29, s1, s29
	s_lshl_b64 s[0:1], s[26:27], 2
	s_add_u32 s0, s28, s0
	s_addc_u32 s1, s29, s1
	s_add_u32 s0, s14, s0
	v_lshlrev_b64 v[4:5], 2, v[2:3]
	s_addc_u32 s1, s15, s1
	v_mov_b32_e32 v1, s1
	v_add_co_u32_e32 v4, vcc, s0, v4
	s_mov_b32 s0, 0
	v_addc_co_u32_e32 v5, vcc, v1, v5, vcc
	s_lshl_b32 s28, s9, 2
	s_mov_b64 s[26:27], 0
	v_mov_b32_e32 v1, 0
	v_mov_b32_e32 v6, s11
	;; [unrolled: 1-line block ×3, first 2 shown]
.LBB3_12:                               ; =>This Inner Loop Header: Depth=1
	v_add_co_u32_e32 v2, vcc, s9, v2
	v_addc_co_u32_e32 v3, vcc, v3, v6, vcc
	global_store_dword v[4:5], v1, off
	v_add_co_u32_e32 v4, vcc, s28, v4
	v_cmp_lt_u64_e64 s[0:1], s[6:7], v[2:3]
	s_or_b64 s[26:27], s[0:1], s[26:27]
	v_addc_co_u32_e32 v5, vcc, v5, v7, vcc
	s_andn2_b64 exec, exec, s[26:27]
	s_cbranch_execnz .LBB3_12
.LBB3_13:
	s_or_b64 exec, exec, s[24:25]
	v_mov_b32_e32 v1, s3
	v_add_co_u32_e32 v2, vcc, s2, v0
	v_addc_co_u32_e32 v3, vcc, 0, v1, vcc
	v_cmp_gt_i64_e32 vcc, s[16:17], v[2:3]
	s_and_saveexec_b64 s[0:1], vcc
	s_cbranch_execz .LBB3_16
; %bb.14:
	s_load_dwordx4 s[0:3], s[4:5], 0x38
	s_load_dwordx2 s[24:25], s[4:5], 0x48
	s_load_dword s7, s[4:5], 0x7c
	v_mov_b32_e32 v6, s15
	s_waitcnt lgkmcnt(0)
	s_mul_i32 s3, s10, s3
	s_mul_hi_u32 s4, s10, s2
	s_add_i32 s3, s4, s3
	s_mul_i32 s4, s8, s25
	s_mul_hi_u32 s5, s8, s24
	s_add_i32 s9, s5, s4
	s_and_b32 s4, s7, 0xffff
	s_add_u32 s5, s22, s18
	s_mul_i32 s2, s10, s2
	s_addc_u32 s10, s23, s19
	s_add_u32 s11, s20, 1
	s_addc_u32 s18, s21, 0
	s_mul_i32 s18, s18, s6
	s_mul_hi_u32 s19, s11, s6
	s_add_i32 s19, s19, s18
	s_mul_i32 s11, s11, s6
	s_add_u32 s5, s5, s11
	s_mul_i32 s8, s8, s24
	s_addc_u32 s10, s10, s19
	v_add_co_u32_e32 v4, vcc, s5, v0
	s_lshl_b32 s5, s4, 2
	s_add_u32 s2, s8, s2
	s_addc_u32 s3, s9, s3
	s_add_u32 s0, s0, 1
	v_mov_b32_e32 v1, s10
	s_addc_u32 s1, s1, 0
	v_addc_co_u32_e32 v5, vcc, 0, v1, vcc
	s_mul_i32 s1, s1, s6
	s_mul_hi_u32 s8, s0, s6
	v_lshlrev_b64 v[4:5], 2, v[4:5]
	s_add_i32 s8, s8, s1
	s_mul_i32 s0, s0, s6
	v_add_co_u32_e32 v1, vcc, s14, v4
	s_add_u32 s0, s2, s0
	v_addc_co_u32_e32 v4, vcc, v6, v5, vcc
	s_addc_u32 s1, s3, s8
	v_mov_b32_e32 v5, s1
	v_add_co_u32_e32 v6, vcc, s0, v0
	v_addc_co_u32_e32 v7, vcc, 0, v5, vcc
	v_lshlrev_b64 v[6:7], 2, v[6:7]
	s_mov_b32 s7, 0
	v_mov_b32_e32 v5, s13
	v_add_co_u32_e32 v0, vcc, s12, v6
	v_addc_co_u32_e32 v5, vcc, v5, v7, vcc
	s_mov_b64 s[0:1], 4
	s_mov_b64 s[2:3], 0
	v_mov_b32_e32 v6, s7
.LBB3_15:                               ; =>This Inner Loop Header: Depth=1
	v_mov_b32_e32 v7, s1
	v_add_co_u32_e32 v8, vcc, s0, v0
	v_addc_co_u32_e32 v9, vcc, v5, v7, vcc
	global_load_dword v10, v[8:9], off
	v_add_co_u32_e32 v2, vcc, s4, v2
	v_addc_co_u32_e32 v3, vcc, v3, v6, vcc
	v_add_co_u32_e32 v8, vcc, s0, v1
	s_add_u32 s0, s0, s5
	v_addc_co_u32_e32 v9, vcc, v4, v7, vcc
	s_addc_u32 s1, s1, 0
	v_cmp_le_i64_e32 vcc, s[16:17], v[2:3]
	s_or_b64 s[2:3], vcc, s[2:3]
	s_waitcnt vmcnt(0)
	global_store_dword v[8:9], v10, off
	s_andn2_b64 exec, exec, s[2:3]
	s_cbranch_execnz .LBB3_15
.LBB3_16:
	s_endpgm
	.section	.rodata,"a",@progbits
	.p2align	6, 0x0
	.amdhsa_kernel _ZL10tri_kernelIfLb0ELi1EEvPKT_PS0_llllllllllll
		.amdhsa_group_segment_fixed_size 0
		.amdhsa_private_segment_fixed_size 0
		.amdhsa_kernarg_size 368
		.amdhsa_user_sgpr_count 6
		.amdhsa_user_sgpr_private_segment_buffer 1
		.amdhsa_user_sgpr_dispatch_ptr 0
		.amdhsa_user_sgpr_queue_ptr 0
		.amdhsa_user_sgpr_kernarg_segment_ptr 1
		.amdhsa_user_sgpr_dispatch_id 0
		.amdhsa_user_sgpr_flat_scratch_init 0
		.amdhsa_user_sgpr_kernarg_preload_length 0
		.amdhsa_user_sgpr_kernarg_preload_offset 0
		.amdhsa_user_sgpr_private_segment_size 0
		.amdhsa_uses_dynamic_stack 0
		.amdhsa_system_sgpr_private_segment_wavefront_offset 0
		.amdhsa_system_sgpr_workgroup_id_x 1
		.amdhsa_system_sgpr_workgroup_id_y 1
		.amdhsa_system_sgpr_workgroup_id_z 1
		.amdhsa_system_sgpr_workgroup_info 0
		.amdhsa_system_vgpr_workitem_id 0
		.amdhsa_next_free_vgpr 16
		.amdhsa_next_free_sgpr 40
		.amdhsa_accum_offset 16
		.amdhsa_reserve_vcc 1
		.amdhsa_reserve_flat_scratch 0
		.amdhsa_float_round_mode_32 0
		.amdhsa_float_round_mode_16_64 0
		.amdhsa_float_denorm_mode_32 3
		.amdhsa_float_denorm_mode_16_64 3
		.amdhsa_dx10_clamp 1
		.amdhsa_ieee_mode 1
		.amdhsa_fp16_overflow 0
		.amdhsa_tg_split 0
		.amdhsa_exception_fp_ieee_invalid_op 0
		.amdhsa_exception_fp_denorm_src 0
		.amdhsa_exception_fp_ieee_div_zero 0
		.amdhsa_exception_fp_ieee_overflow 0
		.amdhsa_exception_fp_ieee_underflow 0
		.amdhsa_exception_fp_ieee_inexact 0
		.amdhsa_exception_int_div_zero 0
	.end_amdhsa_kernel
	.section	.text._ZL10tri_kernelIfLb0ELi1EEvPKT_PS0_llllllllllll,"axG",@progbits,_ZL10tri_kernelIfLb0ELi1EEvPKT_PS0_llllllllllll,comdat
.Lfunc_end3:
	.size	_ZL10tri_kernelIfLb0ELi1EEvPKT_PS0_llllllllllll, .Lfunc_end3-_ZL10tri_kernelIfLb0ELi1EEvPKT_PS0_llllllllllll
                                        ; -- End function
	.section	.AMDGPU.csdata,"",@progbits
; Kernel info:
; codeLenInByte = 1676
; NumSgprs: 44
; NumVgprs: 16
; NumAgprs: 0
; TotalNumVgprs: 16
; ScratchSize: 0
; MemoryBound: 0
; FloatMode: 240
; IeeeMode: 1
; LDSByteSize: 0 bytes/workgroup (compile time only)
; SGPRBlocks: 5
; VGPRBlocks: 1
; NumSGPRsForWavesPerEU: 44
; NumVGPRsForWavesPerEU: 16
; AccumOffset: 16
; Occupancy: 8
; WaveLimiterHint : 0
; COMPUTE_PGM_RSRC2:SCRATCH_EN: 0
; COMPUTE_PGM_RSRC2:USER_SGPR: 6
; COMPUTE_PGM_RSRC2:TRAP_HANDLER: 0
; COMPUTE_PGM_RSRC2:TGID_X_EN: 1
; COMPUTE_PGM_RSRC2:TGID_Y_EN: 1
; COMPUTE_PGM_RSRC2:TGID_Z_EN: 1
; COMPUTE_PGM_RSRC2:TIDIG_COMP_CNT: 0
; COMPUTE_PGM_RSRC3_GFX90A:ACCUM_OFFSET: 3
; COMPUTE_PGM_RSRC3_GFX90A:TG_SPLIT: 0
	.section	.text._ZL10tri_kernelI6__halfLb1ELi0EEvPKT_PS1_llllllllllll,"axG",@progbits,_ZL10tri_kernelI6__halfLb1ELi0EEvPKT_PS1_llllllllllll,comdat
	.globl	_ZL10tri_kernelI6__halfLb1ELi0EEvPKT_PS1_llllllllllll ; -- Begin function _ZL10tri_kernelI6__halfLb1ELi0EEvPKT_PS1_llllllllllll
	.p2align	8
	.type	_ZL10tri_kernelI6__halfLb1ELi0EEvPKT_PS1_llllllllllll,@function
_ZL10tri_kernelI6__halfLb1ELi0EEvPKT_PS1_llllllllllll: ; @_ZL10tri_kernelI6__halfLb1ELi0EEvPKT_PS1_llllllllllll
; %bb.0:
	s_load_dwordx8 s[12:19], s[4:5], 0x0
	s_load_dwordx4 s[0:3], s[4:5], 0x20
	s_mov_b32 s9, 0
	s_mov_b32 s20, s7
	;; [unrolled: 1-line block ×3, first 2 shown]
	s_waitcnt lgkmcnt(0)
	v_mov_b32_e32 v2, s18
	v_mov_b32_e32 v4, s0
	;; [unrolled: 1-line block ×6, first 2 shown]
	s_mov_b32 s7, s9
	v_cmp_ge_i64_e32 vcc, s[8:9], v[6:7]
	v_cmp_ge_i64_e64 s[0:1], s[20:21], v[4:5]
	s_or_b64 s[0:1], s[0:1], vcc
	v_cmp_ge_i64_e32 vcc, s[6:7], v[2:3]
	s_or_b64 s[0:1], vcc, s[0:1]
	s_and_b64 vcc, exec, s[0:1]
	s_cbranch_vccnz .LBB4_16
; %bb.1:
	s_load_dwordx4 s[24:27], s[4:5], 0x58
	s_load_dwordx2 s[0:1], s[4:5], 0x68
	v_mov_b32_e32 v1, 0
	v_cmp_gt_u32_e32 vcc, s6, v0
	s_waitcnt lgkmcnt(0)
	s_mul_i32 s3, s6, s25
	s_mul_hi_u32 s9, s6, s24
	s_mul_i32 s10, s20, s27
	s_add_i32 s3, s9, s3
	s_mul_hi_u32 s9, s20, s26
	s_add_i32 s11, s9, s10
	s_mul_i32 s1, s8, s1
	s_mul_hi_u32 s9, s8, s0
	s_mul_i32 s2, s6, s24
	s_mul_i32 s10, s20, s26
	s_add_i32 s19, s9, s1
	s_mul_i32 s18, s8, s0
	s_and_saveexec_b64 s[0:1], vcc
	s_cbranch_execz .LBB4_4
; %bb.2:
	s_load_dword s9, s[4:5], 0x7c
	s_load_dwordx4 s[24:27], s[4:5], 0x38
	s_load_dwordx2 s[28:29], s[4:5], 0x48
	s_lshl_b64 s[22:23], s[18:19], 1
	s_lshl_b64 s[30:31], s[10:11], 1
	s_waitcnt lgkmcnt(0)
	s_and_b32 s21, s9, 0xffff
	s_add_u32 s9, s22, s30
	s_addc_u32 s30, s23, s31
	s_lshl_b64 s[22:23], s[2:3], 1
	s_add_u32 s9, s9, s22
	s_addc_u32 s22, s30, s23
	v_lshlrev_b32_e32 v2, 1, v0
	s_add_u32 s9, s14, s9
	v_add_co_u32_e32 v4, vcc, s9, v2
	s_mul_i32 s9, s29, s8
	s_mul_hi_u32 s23, s28, s8
	s_addc_u32 s22, s15, s22
	s_add_i32 s9, s23, s9
	s_mul_i32 s23, s27, s20
	s_mul_hi_u32 s27, s26, s20
	s_mul_i32 s8, s28, s8
	s_add_i32 s27, s27, s23
	s_mul_i32 s26, s26, s20
	v_mov_b32_e32 v3, s22
	s_lshl_b32 s22, s21, 1
	s_lshl_b64 s[8:9], s[8:9], 1
	s_lshl_b64 s[26:27], s[26:27], 1
	s_add_u32 s20, s8, s26
	s_addc_u32 s23, s9, s27
	s_mul_i32 s8, s25, s6
	s_mul_hi_u32 s9, s24, s6
	s_add_i32 s9, s9, s8
	s_mul_i32 s8, s24, s6
	s_lshl_b64 s[8:9], s[8:9], 1
	s_add_u32 s8, s20, s8
	s_addc_u32 s9, s23, s9
	s_add_u32 s8, s12, s8
	v_addc_co_u32_e32 v5, vcc, 0, v3, vcc
	s_addc_u32 s9, s13, s9
	s_mov_b32 s33, 0
	v_mov_b32_e32 v3, s9
	v_add_co_u32_e32 v6, vcc, s8, v2
	v_addc_co_u32_e32 v7, vcc, 0, v3, vcc
	s_mov_b64 s[8:9], 0
	v_mov_b32_e32 v8, s33
	s_mov_b64 s[12:13], 0
	v_pk_mov_b32 v[2:3], v[0:1], v[0:1] op_sel:[0,1]
.LBB4_3:                                ; =>This Inner Loop Header: Depth=1
	v_mov_b32_e32 v1, s13
	v_add_co_u32_e32 v10, vcc, s12, v6
	v_addc_co_u32_e32 v11, vcc, v7, v1, vcc
	global_load_ushort v9, v[10:11], off
	v_add_co_u32_e32 v2, vcc, s21, v2
	v_addc_co_u32_e32 v3, vcc, v3, v8, vcc
	v_add_co_u32_e32 v10, vcc, s12, v4
	s_add_u32 s12, s12, s22
	v_addc_co_u32_e32 v11, vcc, v5, v1, vcc
	s_addc_u32 s13, s13, 0
	v_cmp_le_u64_e32 vcc, s[6:7], v[2:3]
	s_or_b64 s[8:9], vcc, s[8:9]
	s_waitcnt vmcnt(0)
	global_store_short v[10:11], v9, off
	s_andn2_b64 exec, exec, s[8:9]
	s_cbranch_execnz .LBB4_3
.LBB4_4:
	s_or_b64 exec, exec, s[0:1]
	v_mov_b32_e32 v1, s7
	v_add_co_u32_e32 v0, vcc, s6, v0
	v_addc_co_u32_e32 v1, vcc, 0, v1, vcc
	v_cmp_gt_i64_e32 vcc, s[16:17], v[0:1]
	s_and_saveexec_b64 s[0:1], vcc
	s_cbranch_execz .LBB4_16
; %bb.5:
	s_load_dword s0, s[4:5], 0x7c
	v_mov_b32_e32 v2, s17
	s_mov_b32 s9, 0
	s_waitcnt lgkmcnt(0)
	s_and_b32 s8, s0, 0xffff
	v_add_co_u32_e32 v4, vcc, s8, v0
	v_addc_co_u32_e32 v5, vcc, 0, v1, vcc
	v_cmp_gt_i64_e32 vcc, s[16:17], v[4:5]
	v_cndmask_b32_e32 v6, v5, v2, vcc
	v_mov_b32_e32 v2, s16
	v_cndmask_b32_e32 v3, v4, v2, vcc
	v_cndmask_b32_e64 v2, 0, 1, vcc
	v_add_co_u32_e32 v4, vcc, v4, v2
	v_addc_co_u32_e32 v5, vcc, 0, v5, vcc
	v_sub_co_u32_e32 v3, vcc, v3, v4
	v_subb_co_u32_e32 v5, vcc, v6, v5, vcc
	v_mov_b32_e32 v4, 0
	v_cmp_ne_u64_e32 vcc, 0, v[4:5]
                                        ; implicit-def: $vgpr6_vgpr7
	s_and_saveexec_b64 s[0:1], vcc
	s_xor_b64 s[4:5], exec, s[0:1]
	s_cbranch_execz .LBB4_7
; %bb.6:
	v_cvt_f32_u32_e32 v4, s8
	v_mov_b32_e32 v6, 0x4f800000
	s_sub_u32 s0, 0, s8
	s_subb_u32 s1, 0, 0
	v_mac_f32_e32 v4, 0, v6
	v_rcp_f32_e32 v4, v4
	v_mul_f32_e32 v4, 0x5f7ffffc, v4
	v_mul_f32_e32 v6, 0x2f800000, v4
	v_trunc_f32_e32 v6, v6
	v_madmk_f32 v4, v6, 0xcf800000, v4
	v_cvt_u32_f32_e32 v6, v6
	v_cvt_u32_f32_e32 v4, v4
	v_mul_lo_u32 v7, s0, v6
	v_mul_hi_u32 v9, s0, v4
	v_mul_lo_u32 v8, s1, v4
	v_add_u32_e32 v7, v9, v7
	v_mul_lo_u32 v10, s0, v4
	v_add_u32_e32 v7, v7, v8
	v_mul_hi_u32 v9, v4, v10
	v_mul_lo_u32 v11, v4, v7
	v_mul_hi_u32 v8, v4, v7
	v_add_co_u32_e32 v9, vcc, v9, v11
	v_addc_co_u32_e32 v8, vcc, 0, v8, vcc
	v_mul_hi_u32 v12, v6, v10
	v_mul_lo_u32 v10, v6, v10
	v_add_co_u32_e32 v9, vcc, v9, v10
	v_mul_hi_u32 v11, v6, v7
	v_addc_co_u32_e32 v8, vcc, v8, v12, vcc
	v_addc_co_u32_e32 v9, vcc, 0, v11, vcc
	v_mul_lo_u32 v7, v6, v7
	v_add_co_u32_e32 v7, vcc, v8, v7
	v_addc_co_u32_e32 v8, vcc, 0, v9, vcc
	v_add_co_u32_e32 v4, vcc, v4, v7
	v_addc_co_u32_e32 v6, vcc, v6, v8, vcc
	v_mul_lo_u32 v7, s0, v6
	v_mul_hi_u32 v8, s0, v4
	v_add_u32_e32 v7, v8, v7
	v_mul_lo_u32 v8, s1, v4
	v_add_u32_e32 v7, v7, v8
	v_mul_lo_u32 v9, s0, v4
	v_mul_hi_u32 v10, v6, v9
	v_mul_lo_u32 v11, v6, v9
	v_mul_lo_u32 v13, v4, v7
	v_mul_hi_u32 v9, v4, v9
	v_mul_hi_u32 v12, v4, v7
	v_add_co_u32_e32 v9, vcc, v9, v13
	v_addc_co_u32_e32 v12, vcc, 0, v12, vcc
	v_add_co_u32_e32 v9, vcc, v9, v11
	v_mul_hi_u32 v8, v6, v7
	v_addc_co_u32_e32 v9, vcc, v12, v10, vcc
	v_addc_co_u32_e32 v8, vcc, 0, v8, vcc
	v_mul_lo_u32 v7, v6, v7
	v_add_co_u32_e32 v7, vcc, v9, v7
	v_addc_co_u32_e32 v8, vcc, 0, v8, vcc
	v_add_co_u32_e32 v4, vcc, v4, v7
	v_addc_co_u32_e32 v8, vcc, v6, v8, vcc
	v_mad_u64_u32 v[6:7], s[0:1], v3, v8, 0
	v_mul_hi_u32 v9, v3, v4
	v_add_co_u32_e32 v10, vcc, v9, v6
	v_addc_co_u32_e32 v11, vcc, 0, v7, vcc
	v_mad_u64_u32 v[6:7], s[0:1], v5, v8, 0
	v_mad_u64_u32 v[8:9], s[0:1], v5, v4, 0
	v_add_co_u32_e32 v4, vcc, v10, v8
	v_addc_co_u32_e32 v4, vcc, v11, v9, vcc
	v_addc_co_u32_e32 v7, vcc, 0, v7, vcc
	v_add_co_u32_e32 v10, vcc, v4, v6
	v_addc_co_u32_e32 v11, vcc, 0, v7, vcc
	v_mad_u64_u32 v[6:7], s[0:1], s8, v10, 0
	v_mov_b32_e32 v4, v7
	v_mad_u64_u32 v[8:9], s[0:1], s8, v11, v[4:5]
	v_sub_co_u32_e32 v3, vcc, v3, v6
	v_subb_co_u32_e32 v4, vcc, v5, v8, vcc
	v_subrev_co_u32_e32 v5, vcc, s8, v3
	v_subbrev_co_u32_e32 v6, vcc, 0, v4, vcc
	v_cmp_le_u32_e32 vcc, s8, v5
	v_cndmask_b32_e64 v5, 0, -1, vcc
	v_cmp_eq_u32_e32 vcc, 0, v6
	v_cndmask_b32_e32 v5, -1, v5, vcc
	v_add_co_u32_e32 v6, vcc, 2, v10
	v_addc_co_u32_e32 v7, vcc, 0, v11, vcc
	v_add_co_u32_e32 v8, vcc, 1, v10
	v_cmp_le_u32_e64 s[0:1], s8, v3
	v_addc_co_u32_e32 v9, vcc, 0, v11, vcc
	v_cndmask_b32_e64 v3, 0, -1, s[0:1]
	v_cmp_eq_u32_e64 s[0:1], 0, v4
	v_cmp_ne_u32_e32 vcc, 0, v5
	v_cndmask_b32_e64 v3, -1, v3, s[0:1]
	v_cndmask_b32_e32 v5, v9, v7, vcc
	v_cmp_ne_u32_e64 s[0:1], 0, v3
	v_cndmask_b32_e32 v3, v8, v6, vcc
	v_cndmask_b32_e64 v7, v11, v5, s[0:1]
	v_cndmask_b32_e64 v6, v10, v3, s[0:1]
                                        ; implicit-def: $vgpr3
.LBB4_7:
	s_andn2_saveexec_b64 s[0:1], s[4:5]
	s_cbranch_execz .LBB4_9
; %bb.8:
	v_cvt_f32_u32_e32 v4, s8
	s_sub_i32 s4, 0, s8
	v_mov_b32_e32 v7, 0
	v_rcp_iflag_f32_e32 v4, v4
	v_mul_f32_e32 v4, 0x4f7ffffe, v4
	v_cvt_u32_f32_e32 v4, v4
	v_mul_lo_u32 v5, s4, v4
	v_mul_hi_u32 v5, v4, v5
	v_add_u32_e32 v4, v4, v5
	v_mul_hi_u32 v4, v3, v4
	v_mul_lo_u32 v5, v4, s8
	v_sub_u32_e32 v3, v3, v5
	v_add_u32_e32 v6, 1, v4
	v_subrev_u32_e32 v5, s8, v3
	v_cmp_le_u32_e32 vcc, s8, v3
	v_cndmask_b32_e32 v3, v3, v5, vcc
	v_cndmask_b32_e32 v4, v4, v6, vcc
	v_add_u32_e32 v5, 1, v4
	v_cmp_le_u32_e32 vcc, s8, v3
	v_cndmask_b32_e32 v6, v4, v5, vcc
.LBB4_9:
	s_or_b64 exec, exec, s[0:1]
	v_add_co_u32_e32 v2, vcc, v6, v2
	v_addc_co_u32_e32 v3, vcc, 0, v7, vcc
	v_add_co_u32_e32 v2, vcc, 1, v2
	v_addc_co_u32_e32 v3, vcc, 0, v3, vcc
	v_cmp_lt_u64_e32 vcc, 3, v[2:3]
	v_cmp_eq_u16_e64 s[0:1], s8, 1
	s_and_b64 s[6:7], vcc, s[0:1]
	s_mov_b64 s[0:1], -1
	s_and_saveexec_b64 s[4:5], s[6:7]
	s_cbranch_execz .LBB4_13
; %bb.10:
	s_lshl_b64 s[0:1], s[2:3], 1
	s_add_u32 s6, s14, s0
	s_addc_u32 s7, s15, s1
	s_lshl_b64 s[0:1], s[10:11], 1
	s_add_u32 s6, s6, s0
	s_addc_u32 s7, s7, s1
	s_lshl_b64 s[0:1], s[18:19], 1
	s_add_u32 s0, s6, s0
	s_addc_u32 s1, s7, s1
	v_lshlrev_b64 v[6:7], 1, v[0:1]
	v_mov_b32_e32 v8, s1
	v_add_co_u32_e32 v6, vcc, s0, v6
	v_and_b32_e32 v4, -4, v2
	v_mov_b32_e32 v5, v3
	v_addc_co_u32_e32 v7, vcc, v8, v7, vcc
	s_mov_b32 s0, 0
	v_mov_b32_e32 v8, 0
	s_lshl_b32 s12, s8, 3
	s_mov_b64 s[6:7], 0
	v_mov_b32_e32 v9, v8
	v_mov_b32_e32 v12, s0
	v_pk_mov_b32 v[10:11], v[4:5], v[4:5] op_sel:[0,1]
.LBB4_11:                               ; =>This Inner Loop Header: Depth=1
	v_add_co_u32_e32 v10, vcc, -4, v10
	v_addc_co_u32_e32 v11, vcc, -1, v11, vcc
	global_store_dwordx2 v[6:7], v[8:9], off
	v_add_co_u32_e32 v6, vcc, s12, v6
	v_cmp_eq_u64_e64 s[0:1], 0, v[10:11]
	s_or_b64 s[6:7], s[0:1], s[6:7]
	v_addc_co_u32_e32 v7, vcc, v7, v12, vcc
	s_andn2_b64 exec, exec, s[6:7]
	s_cbranch_execnz .LBB4_11
; %bb.12:
	s_or_b64 exec, exec, s[6:7]
	v_mad_u64_u32 v[0:1], s[0:1], v4, s8, v[0:1]
	v_mov_b32_e32 v6, v1
	v_mad_u64_u32 v[6:7], s[0:1], v5, s8, v[6:7]
	v_cmp_ne_u64_e32 vcc, v[2:3], v[4:5]
	v_mov_b32_e32 v1, v6
	s_orn2_b64 s[0:1], vcc, exec
.LBB4_13:
	s_or_b64 exec, exec, s[4:5]
	s_and_b64 exec, exec, s[0:1]
	s_cbranch_execz .LBB4_16
; %bb.14:
	s_lshl_b64 s[0:1], s[18:19], 1
	s_lshl_b64 s[4:5], s[10:11], 1
	s_add_u32 s4, s0, s4
	s_addc_u32 s5, s1, s5
	s_lshl_b64 s[0:1], s[2:3], 1
	s_add_u32 s0, s4, s0
	s_addc_u32 s1, s5, s1
	s_add_u32 s0, s14, s0
	v_lshlrev_b64 v[2:3], 1, v[0:1]
	s_addc_u32 s1, s15, s1
	v_mov_b32_e32 v4, s1
	v_add_co_u32_e32 v2, vcc, s0, v2
	s_mov_b32 s0, 0
	v_addc_co_u32_e32 v3, vcc, v4, v3, vcc
	s_lshl_b32 s4, s8, 1
	s_mov_b64 s[2:3], 0
	v_mov_b32_e32 v4, 0
	v_mov_b32_e32 v5, s9
	;; [unrolled: 1-line block ×3, first 2 shown]
.LBB4_15:                               ; =>This Inner Loop Header: Depth=1
	v_add_co_u32_e32 v0, vcc, s8, v0
	v_addc_co_u32_e32 v1, vcc, v1, v5, vcc
	global_store_short v[2:3], v4, off
	v_add_co_u32_e32 v2, vcc, s4, v2
	v_cmp_le_i64_e64 s[0:1], s[16:17], v[0:1]
	s_or_b64 s[2:3], s[0:1], s[2:3]
	v_addc_co_u32_e32 v3, vcc, v3, v6, vcc
	s_andn2_b64 exec, exec, s[2:3]
	s_cbranch_execnz .LBB4_15
.LBB4_16:
	s_endpgm
	.section	.rodata,"a",@progbits
	.p2align	6, 0x0
	.amdhsa_kernel _ZL10tri_kernelI6__halfLb1ELi0EEvPKT_PS1_llllllllllll
		.amdhsa_group_segment_fixed_size 0
		.amdhsa_private_segment_fixed_size 0
		.amdhsa_kernarg_size 368
		.amdhsa_user_sgpr_count 6
		.amdhsa_user_sgpr_private_segment_buffer 1
		.amdhsa_user_sgpr_dispatch_ptr 0
		.amdhsa_user_sgpr_queue_ptr 0
		.amdhsa_user_sgpr_kernarg_segment_ptr 1
		.amdhsa_user_sgpr_dispatch_id 0
		.amdhsa_user_sgpr_flat_scratch_init 0
		.amdhsa_user_sgpr_kernarg_preload_length 0
		.amdhsa_user_sgpr_kernarg_preload_offset 0
		.amdhsa_user_sgpr_private_segment_size 0
		.amdhsa_uses_dynamic_stack 0
		.amdhsa_system_sgpr_private_segment_wavefront_offset 0
		.amdhsa_system_sgpr_workgroup_id_x 1
		.amdhsa_system_sgpr_workgroup_id_y 1
		.amdhsa_system_sgpr_workgroup_id_z 1
		.amdhsa_system_sgpr_workgroup_info 0
		.amdhsa_system_vgpr_workitem_id 0
		.amdhsa_next_free_vgpr 14
		.amdhsa_next_free_sgpr 34
		.amdhsa_accum_offset 16
		.amdhsa_reserve_vcc 1
		.amdhsa_reserve_flat_scratch 0
		.amdhsa_float_round_mode_32 0
		.amdhsa_float_round_mode_16_64 0
		.amdhsa_float_denorm_mode_32 3
		.amdhsa_float_denorm_mode_16_64 3
		.amdhsa_dx10_clamp 1
		.amdhsa_ieee_mode 1
		.amdhsa_fp16_overflow 0
		.amdhsa_tg_split 0
		.amdhsa_exception_fp_ieee_invalid_op 0
		.amdhsa_exception_fp_denorm_src 0
		.amdhsa_exception_fp_ieee_div_zero 0
		.amdhsa_exception_fp_ieee_overflow 0
		.amdhsa_exception_fp_ieee_underflow 0
		.amdhsa_exception_fp_ieee_inexact 0
		.amdhsa_exception_int_div_zero 0
	.end_amdhsa_kernel
	.section	.text._ZL10tri_kernelI6__halfLb1ELi0EEvPKT_PS1_llllllllllll,"axG",@progbits,_ZL10tri_kernelI6__halfLb1ELi0EEvPKT_PS1_llllllllllll,comdat
.Lfunc_end4:
	.size	_ZL10tri_kernelI6__halfLb1ELi0EEvPKT_PS1_llllllllllll, .Lfunc_end4-_ZL10tri_kernelI6__halfLb1ELi0EEvPKT_PS1_llllllllllll
                                        ; -- End function
	.section	.AMDGPU.csdata,"",@progbits
; Kernel info:
; codeLenInByte = 1588
; NumSgprs: 38
; NumVgprs: 14
; NumAgprs: 0
; TotalNumVgprs: 14
; ScratchSize: 0
; MemoryBound: 0
; FloatMode: 240
; IeeeMode: 1
; LDSByteSize: 0 bytes/workgroup (compile time only)
; SGPRBlocks: 4
; VGPRBlocks: 1
; NumSGPRsForWavesPerEU: 38
; NumVGPRsForWavesPerEU: 14
; AccumOffset: 16
; Occupancy: 8
; WaveLimiterHint : 0
; COMPUTE_PGM_RSRC2:SCRATCH_EN: 0
; COMPUTE_PGM_RSRC2:USER_SGPR: 6
; COMPUTE_PGM_RSRC2:TRAP_HANDLER: 0
; COMPUTE_PGM_RSRC2:TGID_X_EN: 1
; COMPUTE_PGM_RSRC2:TGID_Y_EN: 1
; COMPUTE_PGM_RSRC2:TGID_Z_EN: 1
; COMPUTE_PGM_RSRC2:TIDIG_COMP_CNT: 0
; COMPUTE_PGM_RSRC3_GFX90A:ACCUM_OFFSET: 3
; COMPUTE_PGM_RSRC3_GFX90A:TG_SPLIT: 0
	.section	.text._ZL10tri_kernelI6__halfLb1ELi1EEvPKT_PS1_llllllllllll,"axG",@progbits,_ZL10tri_kernelI6__halfLb1ELi1EEvPKT_PS1_llllllllllll,comdat
	.globl	_ZL10tri_kernelI6__halfLb1ELi1EEvPKT_PS1_llllllllllll ; -- Begin function _ZL10tri_kernelI6__halfLb1ELi1EEvPKT_PS1_llllllllllll
	.p2align	8
	.type	_ZL10tri_kernelI6__halfLb1ELi1EEvPKT_PS1_llllllllllll,@function
_ZL10tri_kernelI6__halfLb1ELi1EEvPKT_PS1_llllllllllll: ; @_ZL10tri_kernelI6__halfLb1ELi1EEvPKT_PS1_llllllllllll
; %bb.0:
	s_load_dwordx8 s[12:19], s[4:5], 0x0
	s_load_dwordx4 s[0:3], s[4:5], 0x20
	s_mov_b32 s9, 0
	s_mov_b32 s20, s7
	;; [unrolled: 1-line block ×3, first 2 shown]
	s_waitcnt lgkmcnt(0)
	v_mov_b32_e32 v2, s18
	v_mov_b32_e32 v4, s0
	;; [unrolled: 1-line block ×6, first 2 shown]
	s_mov_b32 s7, s9
	v_cmp_ge_i64_e32 vcc, s[8:9], v[6:7]
	v_cmp_ge_i64_e64 s[0:1], s[20:21], v[4:5]
	s_or_b64 s[0:1], s[0:1], vcc
	v_cmp_ge_i64_e32 vcc, s[6:7], v[2:3]
	s_or_b64 s[0:1], vcc, s[0:1]
	s_and_b64 vcc, exec, s[0:1]
	s_cbranch_vccnz .LBB5_16
; %bb.1:
	s_load_dwordx4 s[24:27], s[4:5], 0x58
	s_load_dwordx2 s[0:1], s[4:5], 0x68
	v_mov_b32_e32 v1, 0
	v_cmp_ge_u32_e32 vcc, s6, v0
	s_waitcnt lgkmcnt(0)
	s_mul_i32 s3, s6, s25
	s_mul_hi_u32 s9, s6, s24
	s_mul_i32 s10, s20, s27
	s_add_i32 s3, s9, s3
	s_mul_hi_u32 s9, s20, s26
	s_add_i32 s11, s9, s10
	s_mul_i32 s1, s8, s1
	s_mul_hi_u32 s9, s8, s0
	s_mul_i32 s2, s6, s24
	s_mul_i32 s10, s20, s26
	s_add_i32 s19, s9, s1
	s_mul_i32 s18, s8, s0
	s_and_saveexec_b64 s[0:1], vcc
	s_cbranch_execz .LBB5_4
; %bb.2:
	s_load_dword s9, s[4:5], 0x7c
	s_load_dwordx4 s[24:27], s[4:5], 0x38
	s_load_dwordx2 s[28:29], s[4:5], 0x48
	s_lshl_b64 s[22:23], s[18:19], 1
	s_lshl_b64 s[30:31], s[10:11], 1
	s_waitcnt lgkmcnt(0)
	s_and_b32 s21, s9, 0xffff
	s_add_u32 s9, s22, s30
	s_addc_u32 s30, s23, s31
	s_lshl_b64 s[22:23], s[2:3], 1
	s_add_u32 s9, s9, s22
	s_addc_u32 s22, s30, s23
	v_lshlrev_b32_e32 v2, 1, v0
	s_add_u32 s9, s14, s9
	v_add_co_u32_e32 v4, vcc, s9, v2
	s_mul_i32 s9, s29, s8
	s_mul_hi_u32 s23, s28, s8
	s_addc_u32 s22, s15, s22
	s_add_i32 s9, s23, s9
	s_mul_i32 s23, s27, s20
	s_mul_hi_u32 s27, s26, s20
	s_mul_i32 s8, s28, s8
	s_add_i32 s27, s27, s23
	s_mul_i32 s26, s26, s20
	v_mov_b32_e32 v3, s22
	s_lshl_b32 s22, s21, 1
	s_lshl_b64 s[8:9], s[8:9], 1
	s_lshl_b64 s[26:27], s[26:27], 1
	s_add_u32 s20, s8, s26
	s_addc_u32 s23, s9, s27
	s_mul_i32 s8, s25, s6
	s_mul_hi_u32 s9, s24, s6
	s_add_i32 s9, s9, s8
	s_mul_i32 s8, s24, s6
	s_lshl_b64 s[8:9], s[8:9], 1
	s_add_u32 s8, s20, s8
	s_addc_u32 s9, s23, s9
	s_add_u32 s8, s12, s8
	v_addc_co_u32_e32 v5, vcc, 0, v3, vcc
	s_addc_u32 s9, s13, s9
	s_mov_b32 s33, 0
	v_mov_b32_e32 v3, s9
	v_add_co_u32_e32 v6, vcc, s8, v2
	v_addc_co_u32_e32 v7, vcc, 0, v3, vcc
	s_mov_b64 s[8:9], 0
	v_mov_b32_e32 v8, s33
	s_mov_b64 s[12:13], 0
	v_pk_mov_b32 v[2:3], v[0:1], v[0:1] op_sel:[0,1]
.LBB5_3:                                ; =>This Inner Loop Header: Depth=1
	v_mov_b32_e32 v1, s13
	v_add_co_u32_e32 v10, vcc, s12, v6
	v_addc_co_u32_e32 v11, vcc, v7, v1, vcc
	global_load_ushort v9, v[10:11], off
	v_add_co_u32_e32 v2, vcc, s21, v2
	v_addc_co_u32_e32 v3, vcc, v3, v8, vcc
	v_add_co_u32_e32 v10, vcc, s12, v4
	s_add_u32 s12, s12, s22
	v_addc_co_u32_e32 v11, vcc, v5, v1, vcc
	s_addc_u32 s13, s13, 0
	v_cmp_lt_u64_e32 vcc, s[6:7], v[2:3]
	s_or_b64 s[8:9], vcc, s[8:9]
	s_waitcnt vmcnt(0)
	global_store_short v[10:11], v9, off
	s_andn2_b64 exec, exec, s[8:9]
	s_cbranch_execnz .LBB5_3
.LBB5_4:
	s_or_b64 exec, exec, s[0:1]
	s_add_u32 s0, s6, 1
	s_addc_u32 s1, 0, 0
	v_mov_b32_e32 v1, s1
	v_add_co_u32_e32 v2, vcc, s0, v0
	v_addc_co_u32_e32 v3, vcc, 0, v1, vcc
	v_cmp_gt_i64_e32 vcc, s[16:17], v[2:3]
	s_and_saveexec_b64 s[0:1], vcc
	s_cbranch_execz .LBB5_16
; %bb.5:
	s_load_dword s0, s[4:5], 0x7c
	v_mov_b32_e32 v1, s7
	v_add_co_u32_e32 v0, vcc, s6, v0
	v_addc_co_u32_e32 v1, vcc, 0, v1, vcc
	s_waitcnt lgkmcnt(0)
	s_and_b32 s8, s0, 0xffff
	v_add_co_u32_e32 v6, vcc, s8, v0
	v_addc_co_u32_e32 v7, vcc, 0, v1, vcc
	v_add_co_u32_e32 v4, vcc, 1, v6
	v_addc_co_u32_e32 v5, vcc, 0, v7, vcc
	v_mov_b32_e32 v8, s17
	v_cmp_gt_i64_e32 vcc, s[16:17], v[4:5]
	v_cndmask_b32_e32 v5, v5, v8, vcc
	v_mov_b32_e32 v8, s16
	v_cndmask_b32_e32 v4, v4, v8, vcc
	v_add_co_u32_e32 v8, vcc, -1, v4
	v_addc_co_u32_e32 v9, vcc, -1, v5, vcc
	v_cmp_ne_u64_e32 vcc, v[8:9], v[6:7]
	v_cndmask_b32_e64 v4, 0, 1, vcc
	v_add_co_u32_e32 v5, vcc, v6, v4
	v_addc_co_u32_e32 v6, vcc, 0, v7, vcc
	v_sub_co_u32_e32 v5, vcc, v8, v5
	v_subb_co_u32_e32 v7, vcc, v9, v6, vcc
	v_mov_b32_e32 v6, 0
	s_mov_b32 s9, 0
	v_cmp_ne_u64_e32 vcc, 0, v[6:7]
                                        ; implicit-def: $vgpr8_vgpr9
	s_and_saveexec_b64 s[0:1], vcc
	s_xor_b64 s[4:5], exec, s[0:1]
	s_cbranch_execz .LBB5_7
; %bb.6:
	v_cvt_f32_u32_e32 v6, s8
	v_mov_b32_e32 v8, 0x4f800000
	s_sub_u32 s0, 0, s8
	s_subb_u32 s1, 0, 0
	v_mac_f32_e32 v6, 0, v8
	v_rcp_f32_e32 v6, v6
	v_mul_f32_e32 v6, 0x5f7ffffc, v6
	v_mul_f32_e32 v8, 0x2f800000, v6
	v_trunc_f32_e32 v8, v8
	v_madmk_f32 v6, v8, 0xcf800000, v6
	v_cvt_u32_f32_e32 v8, v8
	v_cvt_u32_f32_e32 v6, v6
	v_mul_lo_u32 v9, s0, v8
	v_mul_hi_u32 v11, s0, v6
	v_mul_lo_u32 v10, s1, v6
	v_add_u32_e32 v9, v11, v9
	v_mul_lo_u32 v12, s0, v6
	v_add_u32_e32 v9, v9, v10
	v_mul_hi_u32 v11, v6, v12
	v_mul_lo_u32 v13, v6, v9
	v_mul_hi_u32 v10, v6, v9
	v_add_co_u32_e32 v11, vcc, v11, v13
	v_addc_co_u32_e32 v10, vcc, 0, v10, vcc
	v_mul_hi_u32 v14, v8, v12
	v_mul_lo_u32 v12, v8, v12
	v_add_co_u32_e32 v11, vcc, v11, v12
	v_mul_hi_u32 v13, v8, v9
	v_addc_co_u32_e32 v10, vcc, v10, v14, vcc
	v_addc_co_u32_e32 v11, vcc, 0, v13, vcc
	v_mul_lo_u32 v9, v8, v9
	v_add_co_u32_e32 v9, vcc, v10, v9
	v_addc_co_u32_e32 v10, vcc, 0, v11, vcc
	v_add_co_u32_e32 v6, vcc, v6, v9
	v_addc_co_u32_e32 v8, vcc, v8, v10, vcc
	v_mul_lo_u32 v9, s0, v8
	v_mul_hi_u32 v10, s0, v6
	v_add_u32_e32 v9, v10, v9
	v_mul_lo_u32 v10, s1, v6
	v_add_u32_e32 v9, v9, v10
	v_mul_lo_u32 v11, s0, v6
	v_mul_hi_u32 v12, v8, v11
	v_mul_lo_u32 v13, v8, v11
	v_mul_lo_u32 v15, v6, v9
	v_mul_hi_u32 v11, v6, v11
	v_mul_hi_u32 v14, v6, v9
	v_add_co_u32_e32 v11, vcc, v11, v15
	v_addc_co_u32_e32 v14, vcc, 0, v14, vcc
	v_add_co_u32_e32 v11, vcc, v11, v13
	v_mul_hi_u32 v10, v8, v9
	v_addc_co_u32_e32 v11, vcc, v14, v12, vcc
	v_addc_co_u32_e32 v10, vcc, 0, v10, vcc
	v_mul_lo_u32 v9, v8, v9
	v_add_co_u32_e32 v9, vcc, v11, v9
	v_addc_co_u32_e32 v10, vcc, 0, v10, vcc
	v_add_co_u32_e32 v6, vcc, v6, v9
	v_addc_co_u32_e32 v10, vcc, v8, v10, vcc
	v_mad_u64_u32 v[8:9], s[0:1], v5, v10, 0
	v_mul_hi_u32 v11, v5, v6
	v_add_co_u32_e32 v12, vcc, v11, v8
	v_addc_co_u32_e32 v13, vcc, 0, v9, vcc
	v_mad_u64_u32 v[8:9], s[0:1], v7, v10, 0
	v_mad_u64_u32 v[10:11], s[0:1], v7, v6, 0
	v_add_co_u32_e32 v6, vcc, v12, v10
	v_addc_co_u32_e32 v6, vcc, v13, v11, vcc
	v_addc_co_u32_e32 v9, vcc, 0, v9, vcc
	v_add_co_u32_e32 v12, vcc, v6, v8
	v_addc_co_u32_e32 v13, vcc, 0, v9, vcc
	v_mad_u64_u32 v[8:9], s[0:1], s8, v12, 0
	v_mov_b32_e32 v6, v9
	v_mad_u64_u32 v[10:11], s[0:1], s8, v13, v[6:7]
	v_sub_co_u32_e32 v5, vcc, v5, v8
	v_subb_co_u32_e32 v6, vcc, v7, v10, vcc
	v_subrev_co_u32_e32 v7, vcc, s8, v5
	v_subbrev_co_u32_e32 v8, vcc, 0, v6, vcc
	v_cmp_le_u32_e32 vcc, s8, v7
	v_cndmask_b32_e64 v7, 0, -1, vcc
	v_cmp_eq_u32_e32 vcc, 0, v8
	v_cndmask_b32_e32 v7, -1, v7, vcc
	v_add_co_u32_e32 v8, vcc, 2, v12
	v_addc_co_u32_e32 v9, vcc, 0, v13, vcc
	v_add_co_u32_e32 v10, vcc, 1, v12
	v_cmp_le_u32_e64 s[0:1], s8, v5
	v_addc_co_u32_e32 v11, vcc, 0, v13, vcc
	v_cndmask_b32_e64 v5, 0, -1, s[0:1]
	v_cmp_eq_u32_e64 s[0:1], 0, v6
	v_cmp_ne_u32_e32 vcc, 0, v7
	v_cndmask_b32_e64 v5, -1, v5, s[0:1]
	v_cndmask_b32_e32 v7, v11, v9, vcc
	v_cmp_ne_u32_e64 s[0:1], 0, v5
	v_cndmask_b32_e32 v5, v10, v8, vcc
	v_cndmask_b32_e64 v9, v13, v7, s[0:1]
	v_cndmask_b32_e64 v8, v12, v5, s[0:1]
                                        ; implicit-def: $vgpr5
.LBB5_7:
	s_andn2_saveexec_b64 s[0:1], s[4:5]
	s_cbranch_execz .LBB5_9
; %bb.8:
	v_cvt_f32_u32_e32 v6, s8
	s_sub_i32 s4, 0, s8
	v_mov_b32_e32 v9, 0
	v_rcp_iflag_f32_e32 v6, v6
	v_mul_f32_e32 v6, 0x4f7ffffe, v6
	v_cvt_u32_f32_e32 v6, v6
	v_mul_lo_u32 v7, s4, v6
	v_mul_hi_u32 v7, v6, v7
	v_add_u32_e32 v6, v6, v7
	v_mul_hi_u32 v6, v5, v6
	v_mul_lo_u32 v7, v6, s8
	v_sub_u32_e32 v5, v5, v7
	v_add_u32_e32 v8, 1, v6
	v_subrev_u32_e32 v7, s8, v5
	v_cmp_le_u32_e32 vcc, s8, v5
	v_cndmask_b32_e32 v5, v5, v7, vcc
	v_cndmask_b32_e32 v6, v6, v8, vcc
	v_add_u32_e32 v7, 1, v6
	v_cmp_le_u32_e32 vcc, s8, v5
	v_cndmask_b32_e32 v8, v6, v7, vcc
.LBB5_9:
	s_or_b64 exec, exec, s[0:1]
	v_add_co_u32_e32 v4, vcc, v8, v4
	v_addc_co_u32_e32 v5, vcc, 0, v9, vcc
	v_add_co_u32_e32 v4, vcc, 1, v4
	v_addc_co_u32_e32 v5, vcc, 0, v5, vcc
	v_cmp_lt_u64_e32 vcc, 3, v[4:5]
	v_cmp_eq_u16_e64 s[0:1], s8, 1
	s_and_b64 s[6:7], vcc, s[0:1]
	s_mov_b64 s[0:1], -1
	s_and_saveexec_b64 s[4:5], s[6:7]
	s_cbranch_execz .LBB5_13
; %bb.10:
	s_lshl_b64 s[0:1], s[2:3], 1
	s_add_u32 s6, s14, s0
	s_addc_u32 s7, s15, s1
	s_lshl_b64 s[0:1], s[10:11], 1
	s_add_u32 s6, s6, s0
	s_addc_u32 s7, s7, s1
	;; [unrolled: 3-line block ×3, first 2 shown]
	v_lshlrev_b64 v[0:1], 1, v[0:1]
	v_mov_b32_e32 v8, s1
	v_add_co_u32_e32 v0, vcc, s0, v0
	v_addc_co_u32_e32 v1, vcc, v8, v1, vcc
	v_and_b32_e32 v6, -4, v4
	v_mov_b32_e32 v7, v5
	v_add_co_u32_e32 v0, vcc, 2, v0
	s_mov_b32 s0, 0
	v_mov_b32_e32 v8, 0
	v_addc_co_u32_e32 v1, vcc, 0, v1, vcc
	s_lshl_b32 s12, s8, 3
	s_mov_b64 s[6:7], 0
	v_mov_b32_e32 v9, v8
	v_mov_b32_e32 v12, s0
	v_pk_mov_b32 v[10:11], v[6:7], v[6:7] op_sel:[0,1]
.LBB5_11:                               ; =>This Inner Loop Header: Depth=1
	v_add_co_u32_e32 v10, vcc, -4, v10
	v_addc_co_u32_e32 v11, vcc, -1, v11, vcc
	global_store_dwordx2 v[0:1], v[8:9], off
	v_add_co_u32_e32 v0, vcc, s12, v0
	v_cmp_eq_u64_e64 s[0:1], 0, v[10:11]
	s_or_b64 s[6:7], s[0:1], s[6:7]
	v_addc_co_u32_e32 v1, vcc, v1, v12, vcc
	s_andn2_b64 exec, exec, s[6:7]
	s_cbranch_execnz .LBB5_11
; %bb.12:
	s_or_b64 exec, exec, s[6:7]
	v_mad_u64_u32 v[2:3], s[0:1], v6, s8, v[2:3]
	v_mov_b32_e32 v0, v3
	v_mad_u64_u32 v[0:1], s[0:1], v7, s8, v[0:1]
	v_cmp_ne_u64_e32 vcc, v[4:5], v[6:7]
	v_mov_b32_e32 v3, v0
	s_orn2_b64 s[0:1], vcc, exec
.LBB5_13:
	s_or_b64 exec, exec, s[4:5]
	s_and_b64 exec, exec, s[0:1]
	s_cbranch_execz .LBB5_16
; %bb.14:
	s_lshl_b64 s[0:1], s[18:19], 1
	s_lshl_b64 s[4:5], s[10:11], 1
	s_add_u32 s4, s0, s4
	s_addc_u32 s5, s1, s5
	s_lshl_b64 s[0:1], s[2:3], 1
	s_add_u32 s0, s4, s0
	s_addc_u32 s1, s5, s1
	s_add_u32 s0, s14, s0
	v_lshlrev_b64 v[0:1], 1, v[2:3]
	s_addc_u32 s1, s15, s1
	v_mov_b32_e32 v4, s1
	v_add_co_u32_e32 v0, vcc, s0, v0
	s_mov_b32 s0, 0
	v_addc_co_u32_e32 v1, vcc, v4, v1, vcc
	s_lshl_b32 s4, s8, 1
	s_mov_b64 s[2:3], 0
	v_mov_b32_e32 v4, 0
	v_mov_b32_e32 v5, s9
	;; [unrolled: 1-line block ×3, first 2 shown]
.LBB5_15:                               ; =>This Inner Loop Header: Depth=1
	v_add_co_u32_e32 v2, vcc, s8, v2
	v_addc_co_u32_e32 v3, vcc, v3, v5, vcc
	global_store_short v[0:1], v4, off
	v_add_co_u32_e32 v0, vcc, s4, v0
	v_cmp_le_i64_e64 s[0:1], s[16:17], v[2:3]
	s_or_b64 s[2:3], s[0:1], s[2:3]
	v_addc_co_u32_e32 v1, vcc, v1, v6, vcc
	s_andn2_b64 exec, exec, s[2:3]
	s_cbranch_execnz .LBB5_15
.LBB5_16:
	s_endpgm
	.section	.rodata,"a",@progbits
	.p2align	6, 0x0
	.amdhsa_kernel _ZL10tri_kernelI6__halfLb1ELi1EEvPKT_PS1_llllllllllll
		.amdhsa_group_segment_fixed_size 0
		.amdhsa_private_segment_fixed_size 0
		.amdhsa_kernarg_size 368
		.amdhsa_user_sgpr_count 6
		.amdhsa_user_sgpr_private_segment_buffer 1
		.amdhsa_user_sgpr_dispatch_ptr 0
		.amdhsa_user_sgpr_queue_ptr 0
		.amdhsa_user_sgpr_kernarg_segment_ptr 1
		.amdhsa_user_sgpr_dispatch_id 0
		.amdhsa_user_sgpr_flat_scratch_init 0
		.amdhsa_user_sgpr_kernarg_preload_length 0
		.amdhsa_user_sgpr_kernarg_preload_offset 0
		.amdhsa_user_sgpr_private_segment_size 0
		.amdhsa_uses_dynamic_stack 0
		.amdhsa_system_sgpr_private_segment_wavefront_offset 0
		.amdhsa_system_sgpr_workgroup_id_x 1
		.amdhsa_system_sgpr_workgroup_id_y 1
		.amdhsa_system_sgpr_workgroup_id_z 1
		.amdhsa_system_sgpr_workgroup_info 0
		.amdhsa_system_vgpr_workitem_id 0
		.amdhsa_next_free_vgpr 16
		.amdhsa_next_free_sgpr 34
		.amdhsa_accum_offset 16
		.amdhsa_reserve_vcc 1
		.amdhsa_reserve_flat_scratch 0
		.amdhsa_float_round_mode_32 0
		.amdhsa_float_round_mode_16_64 0
		.amdhsa_float_denorm_mode_32 3
		.amdhsa_float_denorm_mode_16_64 3
		.amdhsa_dx10_clamp 1
		.amdhsa_ieee_mode 1
		.amdhsa_fp16_overflow 0
		.amdhsa_tg_split 0
		.amdhsa_exception_fp_ieee_invalid_op 0
		.amdhsa_exception_fp_denorm_src 0
		.amdhsa_exception_fp_ieee_div_zero 0
		.amdhsa_exception_fp_ieee_overflow 0
		.amdhsa_exception_fp_ieee_underflow 0
		.amdhsa_exception_fp_ieee_inexact 0
		.amdhsa_exception_int_div_zero 0
	.end_amdhsa_kernel
	.section	.text._ZL10tri_kernelI6__halfLb1ELi1EEvPKT_PS1_llllllllllll,"axG",@progbits,_ZL10tri_kernelI6__halfLb1ELi1EEvPKT_PS1_llllllllllll,comdat
.Lfunc_end5:
	.size	_ZL10tri_kernelI6__halfLb1ELi1EEvPKT_PS1_llllllllllll, .Lfunc_end5-_ZL10tri_kernelI6__halfLb1ELi1EEvPKT_PS1_llllllllllll
                                        ; -- End function
	.section	.AMDGPU.csdata,"",@progbits
; Kernel info:
; codeLenInByte = 1636
; NumSgprs: 38
; NumVgprs: 16
; NumAgprs: 0
; TotalNumVgprs: 16
; ScratchSize: 0
; MemoryBound: 0
; FloatMode: 240
; IeeeMode: 1
; LDSByteSize: 0 bytes/workgroup (compile time only)
; SGPRBlocks: 4
; VGPRBlocks: 1
; NumSGPRsForWavesPerEU: 38
; NumVGPRsForWavesPerEU: 16
; AccumOffset: 16
; Occupancy: 8
; WaveLimiterHint : 0
; COMPUTE_PGM_RSRC2:SCRATCH_EN: 0
; COMPUTE_PGM_RSRC2:USER_SGPR: 6
; COMPUTE_PGM_RSRC2:TRAP_HANDLER: 0
; COMPUTE_PGM_RSRC2:TGID_X_EN: 1
; COMPUTE_PGM_RSRC2:TGID_Y_EN: 1
; COMPUTE_PGM_RSRC2:TGID_Z_EN: 1
; COMPUTE_PGM_RSRC2:TIDIG_COMP_CNT: 0
; COMPUTE_PGM_RSRC3_GFX90A:ACCUM_OFFSET: 3
; COMPUTE_PGM_RSRC3_GFX90A:TG_SPLIT: 0
	.section	.text._ZL10tri_kernelI6__halfLb0ELi0EEvPKT_PS1_llllllllllll,"axG",@progbits,_ZL10tri_kernelI6__halfLb0ELi0EEvPKT_PS1_llllllllllll,comdat
	.globl	_ZL10tri_kernelI6__halfLb0ELi0EEvPKT_PS1_llllllllllll ; -- Begin function _ZL10tri_kernelI6__halfLb0ELi0EEvPKT_PS1_llllllllllll
	.p2align	8
	.type	_ZL10tri_kernelI6__halfLb0ELi0EEvPKT_PS1_llllllllllll,@function
_ZL10tri_kernelI6__halfLb0ELi0EEvPKT_PS1_llllllllllll: ; @_ZL10tri_kernelI6__halfLb0ELi0EEvPKT_PS1_llllllllllll
; %bb.0:
	s_load_dwordx8 s[12:19], s[4:5], 0x0
	s_load_dwordx4 s[0:3], s[4:5], 0x20
	s_mov_b32 s9, 0
	s_mov_b32 s10, s7
	;; [unrolled: 1-line block ×3, first 2 shown]
	s_waitcnt lgkmcnt(0)
	v_mov_b32_e32 v2, s18
	v_mov_b32_e32 v4, s0
	;; [unrolled: 1-line block ×6, first 2 shown]
	s_mov_b32 s7, s9
	v_cmp_ge_i64_e32 vcc, s[8:9], v[6:7]
	v_cmp_ge_i64_e64 s[0:1], s[10:11], v[4:5]
	s_or_b64 s[0:1], s[0:1], vcc
	v_cmp_ge_i64_e32 vcc, s[6:7], v[2:3]
	s_or_b64 s[0:1], vcc, s[0:1]
	s_and_b64 vcc, exec, s[0:1]
	s_cbranch_vccnz .LBB6_16
; %bb.1:
	s_load_dwordx4 s[20:23], s[4:5], 0x58
	s_load_dwordx2 s[0:1], s[4:5], 0x68
	v_mov_b32_e32 v1, 0
	v_pk_mov_b32 v[2:3], v[0:1], v[0:1] op_sel:[0,1]
	v_cmp_gt_u32_e32 vcc, s6, v0
	s_waitcnt lgkmcnt(0)
	s_mul_i32 s2, s10, s23
	s_mul_hi_u32 s3, s10, s22
	s_mul_i32 s1, s8, s1
	s_add_i32 s19, s3, s2
	s_mul_hi_u32 s2, s8, s0
	s_mul_i32 s18, s10, s22
	s_add_i32 s23, s2, s1
	s_mul_i32 s22, s8, s0
	s_and_saveexec_b64 s[2:3], vcc
	s_cbranch_execz .LBB6_13
; %bb.2:
	s_load_dword s0, s[4:5], 0x7c
	v_mov_b32_e32 v4, s7
	s_mov_b32 s11, 0
	s_waitcnt lgkmcnt(0)
	s_and_b32 s9, s0, 0xffff
	v_add_co_u32_e32 v6, vcc, s9, v0
	v_addc_co_u32_e64 v7, s[0:1], 0, 0, vcc
	v_cmp_lt_u64_e32 vcc, s[6:7], v[6:7]
	v_cndmask_b32_e32 v8, v4, v7, vcc
	v_mov_b32_e32 v4, s6
	v_cndmask_b32_e32 v5, v4, v6, vcc
	v_cmp_gt_u64_e32 vcc, s[6:7], v[6:7]
	v_cndmask_b32_e64 v4, 0, 1, vcc
	v_add_co_u32_e32 v6, vcc, v6, v4
	v_addc_co_u32_e32 v7, vcc, 0, v7, vcc
	v_sub_co_u32_e32 v5, vcc, v5, v6
	v_subb_co_u32_e32 v7, vcc, v8, v7, vcc
	v_mov_b32_e32 v6, v1
	v_cmp_ne_u64_e32 vcc, 0, v[6:7]
                                        ; implicit-def: $vgpr8_vgpr9
	s_and_saveexec_b64 s[0:1], vcc
	s_xor_b64 s[24:25], exec, s[0:1]
	s_cbranch_execz .LBB6_4
; %bb.3:
	v_cvt_f32_u32_e32 v6, s9
	v_mov_b32_e32 v8, 0x4f800000
	s_sub_u32 s0, 0, s9
	s_subb_u32 s1, 0, 0
	v_mac_f32_e32 v6, 0, v8
	v_rcp_f32_e32 v6, v6
	v_mul_f32_e32 v6, 0x5f7ffffc, v6
	v_mul_f32_e32 v8, 0x2f800000, v6
	v_trunc_f32_e32 v8, v8
	v_madmk_f32 v6, v8, 0xcf800000, v6
	v_cvt_u32_f32_e32 v8, v8
	v_cvt_u32_f32_e32 v6, v6
	v_mul_lo_u32 v9, s0, v8
	v_mul_hi_u32 v11, s0, v6
	v_mul_lo_u32 v10, s1, v6
	v_add_u32_e32 v9, v11, v9
	v_mul_lo_u32 v12, s0, v6
	v_add_u32_e32 v9, v9, v10
	v_mul_hi_u32 v11, v6, v12
	v_mul_lo_u32 v13, v6, v9
	v_mul_hi_u32 v10, v6, v9
	v_add_co_u32_e32 v11, vcc, v11, v13
	v_addc_co_u32_e32 v10, vcc, 0, v10, vcc
	v_mul_hi_u32 v14, v8, v12
	v_mul_lo_u32 v12, v8, v12
	v_add_co_u32_e32 v11, vcc, v11, v12
	v_mul_hi_u32 v13, v8, v9
	v_addc_co_u32_e32 v10, vcc, v10, v14, vcc
	v_addc_co_u32_e32 v11, vcc, 0, v13, vcc
	v_mul_lo_u32 v9, v8, v9
	v_add_co_u32_e32 v9, vcc, v10, v9
	v_addc_co_u32_e32 v10, vcc, 0, v11, vcc
	v_add_co_u32_e32 v6, vcc, v6, v9
	v_addc_co_u32_e32 v8, vcc, v8, v10, vcc
	v_mul_lo_u32 v9, s0, v8
	v_mul_hi_u32 v10, s0, v6
	v_add_u32_e32 v9, v10, v9
	v_mul_lo_u32 v10, s1, v6
	v_add_u32_e32 v9, v9, v10
	v_mul_lo_u32 v11, s0, v6
	v_mul_hi_u32 v12, v8, v11
	v_mul_lo_u32 v13, v8, v11
	v_mul_lo_u32 v15, v6, v9
	v_mul_hi_u32 v11, v6, v11
	v_mul_hi_u32 v14, v6, v9
	v_add_co_u32_e32 v11, vcc, v11, v15
	v_addc_co_u32_e32 v14, vcc, 0, v14, vcc
	v_add_co_u32_e32 v11, vcc, v11, v13
	v_mul_hi_u32 v10, v8, v9
	v_addc_co_u32_e32 v11, vcc, v14, v12, vcc
	v_addc_co_u32_e32 v10, vcc, 0, v10, vcc
	v_mul_lo_u32 v9, v8, v9
	v_add_co_u32_e32 v9, vcc, v11, v9
	v_addc_co_u32_e32 v10, vcc, 0, v10, vcc
	v_add_co_u32_e32 v6, vcc, v6, v9
	v_addc_co_u32_e32 v10, vcc, v8, v10, vcc
	v_mad_u64_u32 v[8:9], s[0:1], v5, v10, 0
	v_mul_hi_u32 v11, v5, v6
	v_add_co_u32_e32 v12, vcc, v11, v8
	v_addc_co_u32_e32 v13, vcc, 0, v9, vcc
	v_mad_u64_u32 v[8:9], s[0:1], v7, v10, 0
	v_mad_u64_u32 v[10:11], s[0:1], v7, v6, 0
	v_add_co_u32_e32 v6, vcc, v12, v10
	v_addc_co_u32_e32 v6, vcc, v13, v11, vcc
	v_addc_co_u32_e32 v9, vcc, 0, v9, vcc
	v_add_co_u32_e32 v12, vcc, v6, v8
	v_addc_co_u32_e32 v13, vcc, 0, v9, vcc
	v_mad_u64_u32 v[8:9], s[0:1], s9, v12, 0
	v_mov_b32_e32 v6, v9
	v_mad_u64_u32 v[10:11], s[0:1], s9, v13, v[6:7]
	v_sub_co_u32_e32 v5, vcc, v5, v8
	v_subb_co_u32_e32 v6, vcc, v7, v10, vcc
	v_subrev_co_u32_e32 v7, vcc, s9, v5
	v_subbrev_co_u32_e32 v8, vcc, 0, v6, vcc
	v_cmp_le_u32_e32 vcc, s9, v7
	v_cndmask_b32_e64 v7, 0, -1, vcc
	v_cmp_eq_u32_e32 vcc, 0, v8
	v_cndmask_b32_e32 v7, -1, v7, vcc
	v_add_co_u32_e32 v8, vcc, 2, v12
	v_addc_co_u32_e32 v9, vcc, 0, v13, vcc
	v_add_co_u32_e32 v10, vcc, 1, v12
	v_cmp_le_u32_e64 s[0:1], s9, v5
	v_addc_co_u32_e32 v11, vcc, 0, v13, vcc
	v_cndmask_b32_e64 v5, 0, -1, s[0:1]
	v_cmp_eq_u32_e64 s[0:1], 0, v6
	v_cmp_ne_u32_e32 vcc, 0, v7
	v_cndmask_b32_e64 v5, -1, v5, s[0:1]
	v_cndmask_b32_e32 v7, v11, v9, vcc
	v_cmp_ne_u32_e64 s[0:1], 0, v5
	v_cndmask_b32_e32 v5, v10, v8, vcc
	v_cndmask_b32_e64 v9, v13, v7, s[0:1]
	v_cndmask_b32_e64 v8, v12, v5, s[0:1]
                                        ; implicit-def: $vgpr5
.LBB6_4:
	s_andn2_saveexec_b64 s[0:1], s[24:25]
	s_cbranch_execz .LBB6_6
; %bb.5:
	v_cvt_f32_u32_e32 v6, s9
	s_sub_i32 s24, 0, s9
	v_mov_b32_e32 v9, 0
	v_rcp_iflag_f32_e32 v6, v6
	v_mul_f32_e32 v6, 0x4f7ffffe, v6
	v_cvt_u32_f32_e32 v6, v6
	v_mul_lo_u32 v7, s24, v6
	v_mul_hi_u32 v7, v6, v7
	v_add_u32_e32 v6, v6, v7
	v_mul_hi_u32 v6, v5, v6
	v_mul_lo_u32 v7, v6, s9
	v_sub_u32_e32 v5, v5, v7
	v_add_u32_e32 v8, 1, v6
	v_subrev_u32_e32 v7, s9, v5
	v_cmp_le_u32_e32 vcc, s9, v5
	v_cndmask_b32_e32 v5, v5, v7, vcc
	v_cndmask_b32_e32 v6, v6, v8, vcc
	v_add_u32_e32 v7, 1, v6
	v_cmp_le_u32_e32 vcc, s9, v5
	v_cndmask_b32_e32 v8, v6, v7, vcc
.LBB6_6:
	s_or_b64 exec, exec, s[0:1]
	v_add_co_u32_e32 v4, vcc, v8, v4
	v_addc_co_u32_e32 v5, vcc, 0, v9, vcc
	v_add_co_u32_e32 v6, vcc, 1, v4
	s_mul_i32 s0, s6, s21
	s_mul_hi_u32 s1, s6, s20
	v_addc_co_u32_e32 v7, vcc, 0, v5, vcc
	s_add_i32 s25, s1, s0
	v_cmp_lt_u64_e32 vcc, 31, v[6:7]
	v_cmp_eq_u16_e64 s[0:1], s9, 1
	s_mul_i32 s24, s6, s20
	s_and_b64 s[28:29], vcc, s[0:1]
	s_mov_b64 s[0:1], -1
	s_and_saveexec_b64 s[26:27], s[28:29]
	s_cbranch_execz .LBB6_10
; %bb.7:
	s_lshl_b64 s[0:1], s[24:25], 1
	s_add_u32 s28, s14, s0
	s_addc_u32 s29, s15, s1
	s_lshl_b64 s[0:1], s[18:19], 1
	s_add_u32 s28, s28, s0
	s_addc_u32 s29, s29, s1
	;; [unrolled: 3-line block ×3, first 2 shown]
	v_lshlrev_b32_e32 v2, 1, v0
	s_mov_b32 s31, 0
	v_mov_b32_e32 v3, s1
	v_add_co_u32_e32 v10, vcc, s0, v2
	s_mov_b32 s36, s31
	s_mov_b32 s37, s31
	v_and_b32_e32 v8, 0xffffffe0, v6
	v_mov_b32_e32 v9, v7
	v_addc_co_u32_e32 v11, vcc, 0, v3, vcc
	s_mov_b32 s38, s31
	s_mov_b32 s39, s31
	v_pk_mov_b32 v[2:3], s[36:37], s[36:37] op_sel:[0,1]
	s_lshl_b32 s30, s9, 6
	s_mov_b64 s[28:29], 0
	v_pk_mov_b32 v[4:5], s[38:39], s[38:39] op_sel:[0,1]
	v_mov_b32_e32 v14, s31
	v_pk_mov_b32 v[12:13], v[8:9], v[8:9] op_sel:[0,1]
.LBB6_8:                                ; =>This Inner Loop Header: Depth=1
	v_add_co_u32_e32 v12, vcc, 0xffffffe0, v12
	v_addc_co_u32_e32 v13, vcc, -1, v13, vcc
	global_store_dwordx4 v[10:11], v[2:5], off
	global_store_dwordx4 v[10:11], v[2:5], off offset:16
	global_store_dwordx4 v[10:11], v[2:5], off offset:32
	;; [unrolled: 1-line block ×3, first 2 shown]
	v_add_co_u32_e64 v10, s[0:1], s30, v10
	v_cmp_eq_u64_e32 vcc, 0, v[12:13]
	s_or_b64 s[28:29], vcc, s[28:29]
	v_addc_co_u32_e64 v11, vcc, v11, v14, s[0:1]
	s_andn2_b64 exec, exec, s[28:29]
	s_cbranch_execnz .LBB6_8
; %bb.9:
	s_or_b64 exec, exec, s[28:29]
	v_mad_u64_u32 v[2:3], s[0:1], v8, s9, v[0:1]
	v_mov_b32_e32 v4, v3
                                        ; kill: def $vgpr1 killed $sgpr0 killed $exec
	v_mad_u64_u32 v[4:5], s[0:1], v9, s9, v[4:5]
	v_cmp_ne_u64_e32 vcc, v[6:7], v[8:9]
	v_mov_b32_e32 v3, v4
	s_orn2_b64 s[0:1], vcc, exec
.LBB6_10:
	s_or_b64 exec, exec, s[26:27]
	s_and_b64 exec, exec, s[0:1]
	s_cbranch_execz .LBB6_13
; %bb.11:
	s_lshl_b64 s[0:1], s[22:23], 1
	s_lshl_b64 s[26:27], s[18:19], 1
	s_add_u32 s26, s0, s26
	s_addc_u32 s27, s1, s27
	s_lshl_b64 s[0:1], s[24:25], 1
	s_add_u32 s0, s26, s0
	s_addc_u32 s1, s27, s1
	s_add_u32 s0, s14, s0
	v_lshlrev_b64 v[4:5], 1, v[2:3]
	s_addc_u32 s1, s15, s1
	v_mov_b32_e32 v1, s1
	v_add_co_u32_e32 v4, vcc, s0, v4
	s_mov_b32 s0, 0
	v_addc_co_u32_e32 v5, vcc, v1, v5, vcc
	s_lshl_b32 s26, s9, 1
	s_mov_b64 s[24:25], 0
	v_mov_b32_e32 v1, 0
	v_mov_b32_e32 v6, s11
	;; [unrolled: 1-line block ×3, first 2 shown]
.LBB6_12:                               ; =>This Inner Loop Header: Depth=1
	v_add_co_u32_e32 v2, vcc, s9, v2
	v_addc_co_u32_e32 v3, vcc, v3, v6, vcc
	global_store_short v[4:5], v1, off
	v_add_co_u32_e32 v4, vcc, s26, v4
	v_cmp_le_u64_e64 s[0:1], s[6:7], v[2:3]
	s_or_b64 s[24:25], s[0:1], s[24:25]
	v_addc_co_u32_e32 v5, vcc, v5, v7, vcc
	s_andn2_b64 exec, exec, s[24:25]
	s_cbranch_execnz .LBB6_12
.LBB6_13:
	s_or_b64 exec, exec, s[2:3]
	v_mov_b32_e32 v1, s7
	v_add_co_u32_e32 v2, vcc, s6, v0
	v_addc_co_u32_e32 v3, vcc, 0, v1, vcc
	v_cmp_gt_i64_e32 vcc, s[16:17], v[2:3]
	s_and_saveexec_b64 s[0:1], vcc
	s_cbranch_execz .LBB6_16
; %bb.14:
	s_load_dword s7, s[4:5], 0x7c
	s_load_dwordx4 s[0:3], s[4:5], 0x38
	s_load_dwordx2 s[24:25], s[4:5], 0x48
	s_lshl_b64 s[22:23], s[22:23], 1
	s_lshl_b64 s[18:19], s[18:19], 1
	s_waitcnt lgkmcnt(0)
	s_and_b32 s4, s7, 0xffff
	s_add_u32 s5, s22, s18
	s_addc_u32 s7, s23, s19
	s_lshl_b64 s[18:19], s[20:21], 1
	s_add_u32 s9, s18, 2
	s_addc_u32 s18, s19, 0
	s_mul_i32 s18, s18, s6
	s_mul_hi_u32 s19, s9, s6
	s_add_i32 s19, s19, s18
	s_mul_i32 s9, s9, s6
	s_add_u32 s5, s5, s9
	s_addc_u32 s7, s7, s19
	s_add_u32 s5, s14, s5
	s_addc_u32 s7, s15, s7
	v_mov_b32_e32 v1, s7
	s_mul_i32 s7, s25, s8
	s_mul_hi_u32 s9, s24, s8
	s_add_i32 s9, s9, s7
	s_mul_i32 s3, s3, s10
	s_mul_hi_u32 s7, s2, s10
	v_lshlrev_b32_e32 v4, 1, v0
	s_mul_i32 s8, s24, s8
	s_add_i32 s3, s7, s3
	s_mul_i32 s2, s2, s10
	v_add_co_u32_e32 v0, vcc, s5, v4
	s_lshl_b32 s5, s4, 1
	s_lshl_b64 s[8:9], s[8:9], 1
	s_lshl_b64 s[2:3], s[2:3], 1
	s_add_u32 s2, s8, s2
	s_addc_u32 s3, s9, s3
	s_lshl_b64 s[0:1], s[0:1], 1
	s_add_u32 s0, s0, 2
	s_addc_u32 s1, s1, 0
	s_mul_i32 s1, s1, s6
	s_mul_hi_u32 s7, s0, s6
	s_add_i32 s7, s7, s1
	s_mul_i32 s0, s0, s6
	s_add_u32 s0, s2, s0
	s_addc_u32 s1, s3, s7
	s_add_u32 s0, s12, s0
	v_addc_co_u32_e32 v1, vcc, 0, v1, vcc
	s_addc_u32 s1, s13, s1
	s_mov_b32 s11, 0
	v_mov_b32_e32 v5, s1
	v_add_co_u32_e32 v4, vcc, s0, v4
	v_addc_co_u32_e32 v5, vcc, 0, v5, vcc
	s_mov_b64 s[0:1], 0
	v_mov_b32_e32 v6, s11
	s_mov_b64 s[2:3], 0
.LBB6_15:                               ; =>This Inner Loop Header: Depth=1
	v_mov_b32_e32 v7, s3
	v_add_co_u32_e32 v8, vcc, s2, v4
	v_addc_co_u32_e32 v9, vcc, v5, v7, vcc
	global_load_ushort v10, v[8:9], off
	v_add_co_u32_e32 v2, vcc, s4, v2
	v_addc_co_u32_e32 v3, vcc, v3, v6, vcc
	v_add_co_u32_e32 v8, vcc, s2, v0
	s_add_u32 s2, s2, s5
	v_addc_co_u32_e32 v9, vcc, v1, v7, vcc
	s_addc_u32 s3, s3, 0
	v_cmp_le_i64_e32 vcc, s[16:17], v[2:3]
	s_or_b64 s[0:1], vcc, s[0:1]
	s_waitcnt vmcnt(0)
	global_store_short v[8:9], v10, off
	s_andn2_b64 exec, exec, s[0:1]
	s_cbranch_execnz .LBB6_15
.LBB6_16:
	s_endpgm
	.section	.rodata,"a",@progbits
	.p2align	6, 0x0
	.amdhsa_kernel _ZL10tri_kernelI6__halfLb0ELi0EEvPKT_PS1_llllllllllll
		.amdhsa_group_segment_fixed_size 0
		.amdhsa_private_segment_fixed_size 0
		.amdhsa_kernarg_size 368
		.amdhsa_user_sgpr_count 6
		.amdhsa_user_sgpr_private_segment_buffer 1
		.amdhsa_user_sgpr_dispatch_ptr 0
		.amdhsa_user_sgpr_queue_ptr 0
		.amdhsa_user_sgpr_kernarg_segment_ptr 1
		.amdhsa_user_sgpr_dispatch_id 0
		.amdhsa_user_sgpr_flat_scratch_init 0
		.amdhsa_user_sgpr_kernarg_preload_length 0
		.amdhsa_user_sgpr_kernarg_preload_offset 0
		.amdhsa_user_sgpr_private_segment_size 0
		.amdhsa_uses_dynamic_stack 0
		.amdhsa_system_sgpr_private_segment_wavefront_offset 0
		.amdhsa_system_sgpr_workgroup_id_x 1
		.amdhsa_system_sgpr_workgroup_id_y 1
		.amdhsa_system_sgpr_workgroup_id_z 1
		.amdhsa_system_sgpr_workgroup_info 0
		.amdhsa_system_vgpr_workitem_id 0
		.amdhsa_next_free_vgpr 16
		.amdhsa_next_free_sgpr 40
		.amdhsa_accum_offset 16
		.amdhsa_reserve_vcc 1
		.amdhsa_reserve_flat_scratch 0
		.amdhsa_float_round_mode_32 0
		.amdhsa_float_round_mode_16_64 0
		.amdhsa_float_denorm_mode_32 3
		.amdhsa_float_denorm_mode_16_64 3
		.amdhsa_dx10_clamp 1
		.amdhsa_ieee_mode 1
		.amdhsa_fp16_overflow 0
		.amdhsa_tg_split 0
		.amdhsa_exception_fp_ieee_invalid_op 0
		.amdhsa_exception_fp_denorm_src 0
		.amdhsa_exception_fp_ieee_div_zero 0
		.amdhsa_exception_fp_ieee_overflow 0
		.amdhsa_exception_fp_ieee_underflow 0
		.amdhsa_exception_fp_ieee_inexact 0
		.amdhsa_exception_int_div_zero 0
	.end_amdhsa_kernel
	.section	.text._ZL10tri_kernelI6__halfLb0ELi0EEvPKT_PS1_llllllllllll,"axG",@progbits,_ZL10tri_kernelI6__halfLb0ELi0EEvPKT_PS1_llllllllllll,comdat
.Lfunc_end6:
	.size	_ZL10tri_kernelI6__halfLb0ELi0EEvPKT_PS1_llllllllllll, .Lfunc_end6-_ZL10tri_kernelI6__halfLb0ELi0EEvPKT_PS1_llllllllllll
                                        ; -- End function
	.section	.AMDGPU.csdata,"",@progbits
; Kernel info:
; codeLenInByte = 1684
; NumSgprs: 44
; NumVgprs: 16
; NumAgprs: 0
; TotalNumVgprs: 16
; ScratchSize: 0
; MemoryBound: 0
; FloatMode: 240
; IeeeMode: 1
; LDSByteSize: 0 bytes/workgroup (compile time only)
; SGPRBlocks: 5
; VGPRBlocks: 1
; NumSGPRsForWavesPerEU: 44
; NumVGPRsForWavesPerEU: 16
; AccumOffset: 16
; Occupancy: 8
; WaveLimiterHint : 0
; COMPUTE_PGM_RSRC2:SCRATCH_EN: 0
; COMPUTE_PGM_RSRC2:USER_SGPR: 6
; COMPUTE_PGM_RSRC2:TRAP_HANDLER: 0
; COMPUTE_PGM_RSRC2:TGID_X_EN: 1
; COMPUTE_PGM_RSRC2:TGID_Y_EN: 1
; COMPUTE_PGM_RSRC2:TGID_Z_EN: 1
; COMPUTE_PGM_RSRC2:TIDIG_COMP_CNT: 0
; COMPUTE_PGM_RSRC3_GFX90A:ACCUM_OFFSET: 3
; COMPUTE_PGM_RSRC3_GFX90A:TG_SPLIT: 0
	.section	.text._ZL10tri_kernelI6__halfLb0ELi1EEvPKT_PS1_llllllllllll,"axG",@progbits,_ZL10tri_kernelI6__halfLb0ELi1EEvPKT_PS1_llllllllllll,comdat
	.globl	_ZL10tri_kernelI6__halfLb0ELi1EEvPKT_PS1_llllllllllll ; -- Begin function _ZL10tri_kernelI6__halfLb0ELi1EEvPKT_PS1_llllllllllll
	.p2align	8
	.type	_ZL10tri_kernelI6__halfLb0ELi1EEvPKT_PS1_llllllllllll,@function
_ZL10tri_kernelI6__halfLb0ELi1EEvPKT_PS1_llllllllllll: ; @_ZL10tri_kernelI6__halfLb0ELi1EEvPKT_PS1_llllllllllll
; %bb.0:
	s_load_dwordx8 s[12:19], s[4:5], 0x0
	s_load_dwordx4 s[0:3], s[4:5], 0x20
	s_mov_b32 s9, 0
	s_mov_b32 s10, s7
	;; [unrolled: 1-line block ×3, first 2 shown]
	s_waitcnt lgkmcnt(0)
	v_mov_b32_e32 v2, s18
	v_mov_b32_e32 v4, s0
	;; [unrolled: 1-line block ×6, first 2 shown]
	s_mov_b32 s7, s9
	v_cmp_ge_i64_e32 vcc, s[8:9], v[6:7]
	v_cmp_ge_i64_e64 s[0:1], s[10:11], v[4:5]
	s_or_b64 s[0:1], s[0:1], vcc
	v_cmp_ge_i64_e32 vcc, s[6:7], v[2:3]
	s_or_b64 s[0:1], vcc, s[0:1]
	s_and_b64 vcc, exec, s[0:1]
	s_cbranch_vccnz .LBB7_16
; %bb.1:
	s_load_dwordx4 s[20:23], s[4:5], 0x58
	s_load_dwordx2 s[0:1], s[4:5], 0x68
	s_add_u32 s2, s6, 1
	s_addc_u32 s3, 0, 0
	v_mov_b32_e32 v1, 0
	s_waitcnt lgkmcnt(0)
	s_mul_i32 s9, s10, s23
	s_mul_hi_u32 s11, s10, s22
	s_add_i32 s19, s11, s9
	s_mul_i32 s1, s8, s1
	s_mul_hi_u32 s9, s8, s0
	s_mul_i32 s18, s10, s22
	s_add_i32 s23, s9, s1
	s_mul_i32 s22, s8, s0
	v_pk_mov_b32 v[2:3], v[0:1], v[0:1] op_sel:[0,1]
	v_cmp_ge_u32_e32 vcc, s6, v0
	s_and_saveexec_b64 s[24:25], vcc
	s_cbranch_execz .LBB7_13
; %bb.2:
	s_load_dword s0, s[4:5], 0x7c
	v_mov_b32_e32 v4, s3
	s_mov_b32 s11, 0
	s_waitcnt lgkmcnt(0)
	s_and_b32 s9, s0, 0xffff
	v_add_co_u32_e32 v6, vcc, s9, v0
	v_addc_co_u32_e64 v7, s[0:1], 0, 0, vcc
	v_cmp_lt_u64_e32 vcc, s[2:3], v[6:7]
	v_cndmask_b32_e32 v8, v4, v7, vcc
	v_mov_b32_e32 v4, s2
	v_cndmask_b32_e32 v5, v4, v6, vcc
	v_cmp_ge_u64_e32 vcc, s[6:7], v[6:7]
	v_cndmask_b32_e64 v4, 0, 1, vcc
	v_add_co_u32_e32 v6, vcc, v6, v4
	v_addc_co_u32_e32 v7, vcc, 0, v7, vcc
	v_sub_co_u32_e32 v5, vcc, v5, v6
	v_subb_co_u32_e32 v7, vcc, v8, v7, vcc
	v_mov_b32_e32 v6, v1
	v_cmp_ne_u64_e32 vcc, 0, v[6:7]
                                        ; implicit-def: $vgpr8_vgpr9
	s_and_saveexec_b64 s[0:1], vcc
	s_xor_b64 s[26:27], exec, s[0:1]
	s_cbranch_execz .LBB7_4
; %bb.3:
	v_cvt_f32_u32_e32 v6, s9
	v_mov_b32_e32 v8, 0x4f800000
	s_sub_u32 s0, 0, s9
	s_subb_u32 s1, 0, 0
	v_mac_f32_e32 v6, 0, v8
	v_rcp_f32_e32 v6, v6
	v_mul_f32_e32 v6, 0x5f7ffffc, v6
	v_mul_f32_e32 v8, 0x2f800000, v6
	v_trunc_f32_e32 v8, v8
	v_madmk_f32 v6, v8, 0xcf800000, v6
	v_cvt_u32_f32_e32 v8, v8
	v_cvt_u32_f32_e32 v6, v6
	v_mul_lo_u32 v9, s0, v8
	v_mul_hi_u32 v11, s0, v6
	v_mul_lo_u32 v10, s1, v6
	v_add_u32_e32 v9, v11, v9
	v_mul_lo_u32 v12, s0, v6
	v_add_u32_e32 v9, v9, v10
	v_mul_hi_u32 v11, v6, v12
	v_mul_lo_u32 v13, v6, v9
	v_mul_hi_u32 v10, v6, v9
	v_add_co_u32_e32 v11, vcc, v11, v13
	v_addc_co_u32_e32 v10, vcc, 0, v10, vcc
	v_mul_hi_u32 v14, v8, v12
	v_mul_lo_u32 v12, v8, v12
	v_add_co_u32_e32 v11, vcc, v11, v12
	v_mul_hi_u32 v13, v8, v9
	v_addc_co_u32_e32 v10, vcc, v10, v14, vcc
	v_addc_co_u32_e32 v11, vcc, 0, v13, vcc
	v_mul_lo_u32 v9, v8, v9
	v_add_co_u32_e32 v9, vcc, v10, v9
	v_addc_co_u32_e32 v10, vcc, 0, v11, vcc
	v_add_co_u32_e32 v6, vcc, v6, v9
	v_addc_co_u32_e32 v8, vcc, v8, v10, vcc
	v_mul_lo_u32 v9, s0, v8
	v_mul_hi_u32 v10, s0, v6
	v_add_u32_e32 v9, v10, v9
	v_mul_lo_u32 v10, s1, v6
	v_add_u32_e32 v9, v9, v10
	v_mul_lo_u32 v11, s0, v6
	v_mul_hi_u32 v12, v8, v11
	v_mul_lo_u32 v13, v8, v11
	v_mul_lo_u32 v15, v6, v9
	v_mul_hi_u32 v11, v6, v11
	v_mul_hi_u32 v14, v6, v9
	v_add_co_u32_e32 v11, vcc, v11, v15
	v_addc_co_u32_e32 v14, vcc, 0, v14, vcc
	v_add_co_u32_e32 v11, vcc, v11, v13
	v_mul_hi_u32 v10, v8, v9
	v_addc_co_u32_e32 v11, vcc, v14, v12, vcc
	v_addc_co_u32_e32 v10, vcc, 0, v10, vcc
	v_mul_lo_u32 v9, v8, v9
	v_add_co_u32_e32 v9, vcc, v11, v9
	v_addc_co_u32_e32 v10, vcc, 0, v10, vcc
	v_add_co_u32_e32 v6, vcc, v6, v9
	v_addc_co_u32_e32 v10, vcc, v8, v10, vcc
	v_mad_u64_u32 v[8:9], s[0:1], v5, v10, 0
	v_mul_hi_u32 v11, v5, v6
	v_add_co_u32_e32 v12, vcc, v11, v8
	v_addc_co_u32_e32 v13, vcc, 0, v9, vcc
	v_mad_u64_u32 v[8:9], s[0:1], v7, v10, 0
	v_mad_u64_u32 v[10:11], s[0:1], v7, v6, 0
	v_add_co_u32_e32 v6, vcc, v12, v10
	v_addc_co_u32_e32 v6, vcc, v13, v11, vcc
	v_addc_co_u32_e32 v9, vcc, 0, v9, vcc
	v_add_co_u32_e32 v12, vcc, v6, v8
	v_addc_co_u32_e32 v13, vcc, 0, v9, vcc
	v_mad_u64_u32 v[8:9], s[0:1], s9, v12, 0
	v_mov_b32_e32 v6, v9
	v_mad_u64_u32 v[10:11], s[0:1], s9, v13, v[6:7]
	v_sub_co_u32_e32 v5, vcc, v5, v8
	v_subb_co_u32_e32 v6, vcc, v7, v10, vcc
	v_subrev_co_u32_e32 v7, vcc, s9, v5
	v_subbrev_co_u32_e32 v8, vcc, 0, v6, vcc
	v_cmp_le_u32_e32 vcc, s9, v7
	v_cndmask_b32_e64 v7, 0, -1, vcc
	v_cmp_eq_u32_e32 vcc, 0, v8
	v_cndmask_b32_e32 v7, -1, v7, vcc
	v_add_co_u32_e32 v8, vcc, 2, v12
	v_addc_co_u32_e32 v9, vcc, 0, v13, vcc
	v_add_co_u32_e32 v10, vcc, 1, v12
	v_cmp_le_u32_e64 s[0:1], s9, v5
	v_addc_co_u32_e32 v11, vcc, 0, v13, vcc
	v_cndmask_b32_e64 v5, 0, -1, s[0:1]
	v_cmp_eq_u32_e64 s[0:1], 0, v6
	v_cmp_ne_u32_e32 vcc, 0, v7
	v_cndmask_b32_e64 v5, -1, v5, s[0:1]
	v_cndmask_b32_e32 v7, v11, v9, vcc
	v_cmp_ne_u32_e64 s[0:1], 0, v5
	v_cndmask_b32_e32 v5, v10, v8, vcc
	v_cndmask_b32_e64 v9, v13, v7, s[0:1]
	v_cndmask_b32_e64 v8, v12, v5, s[0:1]
                                        ; implicit-def: $vgpr5
.LBB7_4:
	s_andn2_saveexec_b64 s[0:1], s[26:27]
	s_cbranch_execz .LBB7_6
; %bb.5:
	v_cvt_f32_u32_e32 v6, s9
	s_sub_i32 s26, 0, s9
	v_mov_b32_e32 v9, 0
	v_rcp_iflag_f32_e32 v6, v6
	v_mul_f32_e32 v6, 0x4f7ffffe, v6
	v_cvt_u32_f32_e32 v6, v6
	v_mul_lo_u32 v7, s26, v6
	v_mul_hi_u32 v7, v6, v7
	v_add_u32_e32 v6, v6, v7
	v_mul_hi_u32 v6, v5, v6
	v_mul_lo_u32 v7, v6, s9
	v_sub_u32_e32 v5, v5, v7
	v_add_u32_e32 v8, 1, v6
	v_subrev_u32_e32 v7, s9, v5
	v_cmp_le_u32_e32 vcc, s9, v5
	v_cndmask_b32_e32 v5, v5, v7, vcc
	v_cndmask_b32_e32 v6, v6, v8, vcc
	v_add_u32_e32 v7, 1, v6
	v_cmp_le_u32_e32 vcc, s9, v5
	v_cndmask_b32_e32 v8, v6, v7, vcc
.LBB7_6:
	s_or_b64 exec, exec, s[0:1]
	v_add_co_u32_e32 v4, vcc, v8, v4
	v_addc_co_u32_e32 v5, vcc, 0, v9, vcc
	v_add_co_u32_e32 v6, vcc, 1, v4
	s_mul_i32 s0, s6, s21
	s_mul_hi_u32 s1, s6, s20
	v_addc_co_u32_e32 v7, vcc, 0, v5, vcc
	s_add_i32 s27, s1, s0
	v_cmp_lt_u64_e32 vcc, 31, v[6:7]
	v_cmp_eq_u16_e64 s[0:1], s9, 1
	s_mul_i32 s26, s6, s20
	s_and_b64 s[30:31], vcc, s[0:1]
	s_mov_b64 s[0:1], -1
	s_and_saveexec_b64 s[28:29], s[30:31]
	s_cbranch_execz .LBB7_10
; %bb.7:
	s_lshl_b64 s[0:1], s[26:27], 1
	s_add_u32 s30, s14, s0
	s_addc_u32 s31, s15, s1
	s_lshl_b64 s[0:1], s[18:19], 1
	s_add_u32 s30, s30, s0
	s_addc_u32 s31, s31, s1
	;; [unrolled: 3-line block ×3, first 2 shown]
	v_lshlrev_b32_e32 v2, 1, v0
	s_mov_b32 s34, 0
	v_mov_b32_e32 v3, s1
	v_add_co_u32_e32 v10, vcc, s0, v2
	s_mov_b32 s36, s34
	s_mov_b32 s37, s34
	v_and_b32_e32 v8, 0xffffffe0, v6
	v_mov_b32_e32 v9, v7
	v_addc_co_u32_e32 v11, vcc, 0, v3, vcc
	s_mov_b32 s38, s34
	s_mov_b32 s39, s34
	v_pk_mov_b32 v[2:3], s[36:37], s[36:37] op_sel:[0,1]
	s_lshl_b32 s33, s9, 6
	s_mov_b64 s[30:31], 0
	v_pk_mov_b32 v[4:5], s[38:39], s[38:39] op_sel:[0,1]
	v_mov_b32_e32 v14, s34
	v_pk_mov_b32 v[12:13], v[8:9], v[8:9] op_sel:[0,1]
.LBB7_8:                                ; =>This Inner Loop Header: Depth=1
	v_add_co_u32_e32 v12, vcc, 0xffffffe0, v12
	v_addc_co_u32_e32 v13, vcc, -1, v13, vcc
	global_store_dwordx4 v[10:11], v[2:5], off
	global_store_dwordx4 v[10:11], v[2:5], off offset:16
	global_store_dwordx4 v[10:11], v[2:5], off offset:32
	;; [unrolled: 1-line block ×3, first 2 shown]
	v_add_co_u32_e64 v10, s[0:1], s33, v10
	v_cmp_eq_u64_e32 vcc, 0, v[12:13]
	s_or_b64 s[30:31], vcc, s[30:31]
	v_addc_co_u32_e64 v11, vcc, v11, v14, s[0:1]
	s_andn2_b64 exec, exec, s[30:31]
	s_cbranch_execnz .LBB7_8
; %bb.9:
	s_or_b64 exec, exec, s[30:31]
	v_mad_u64_u32 v[2:3], s[0:1], v8, s9, v[0:1]
	v_mov_b32_e32 v4, v3
                                        ; kill: def $vgpr1 killed $sgpr0 killed $exec
	v_mad_u64_u32 v[4:5], s[0:1], v9, s9, v[4:5]
	v_cmp_ne_u64_e32 vcc, v[6:7], v[8:9]
	v_mov_b32_e32 v3, v4
	s_orn2_b64 s[0:1], vcc, exec
.LBB7_10:
	s_or_b64 exec, exec, s[28:29]
	s_and_b64 exec, exec, s[0:1]
	s_cbranch_execz .LBB7_13
; %bb.11:
	s_lshl_b64 s[0:1], s[22:23], 1
	s_lshl_b64 s[28:29], s[18:19], 1
	s_add_u32 s28, s0, s28
	s_addc_u32 s29, s1, s29
	s_lshl_b64 s[0:1], s[26:27], 1
	s_add_u32 s0, s28, s0
	s_addc_u32 s1, s29, s1
	s_add_u32 s0, s14, s0
	v_lshlrev_b64 v[4:5], 1, v[2:3]
	s_addc_u32 s1, s15, s1
	v_mov_b32_e32 v1, s1
	v_add_co_u32_e32 v4, vcc, s0, v4
	s_mov_b32 s0, 0
	v_addc_co_u32_e32 v5, vcc, v1, v5, vcc
	s_lshl_b32 s28, s9, 1
	s_mov_b64 s[26:27], 0
	v_mov_b32_e32 v1, 0
	v_mov_b32_e32 v6, s11
	v_mov_b32_e32 v7, s0
.LBB7_12:                               ; =>This Inner Loop Header: Depth=1
	v_add_co_u32_e32 v2, vcc, s9, v2
	v_addc_co_u32_e32 v3, vcc, v3, v6, vcc
	global_store_short v[4:5], v1, off
	v_add_co_u32_e32 v4, vcc, s28, v4
	v_cmp_lt_u64_e64 s[0:1], s[6:7], v[2:3]
	s_or_b64 s[26:27], s[0:1], s[26:27]
	v_addc_co_u32_e32 v5, vcc, v5, v7, vcc
	s_andn2_b64 exec, exec, s[26:27]
	s_cbranch_execnz .LBB7_12
.LBB7_13:
	s_or_b64 exec, exec, s[24:25]
	v_mov_b32_e32 v1, s3
	v_add_co_u32_e32 v2, vcc, s2, v0
	v_addc_co_u32_e32 v3, vcc, 0, v1, vcc
	v_cmp_gt_i64_e32 vcc, s[16:17], v[2:3]
	s_and_saveexec_b64 s[0:1], vcc
	s_cbranch_execz .LBB7_16
; %bb.14:
	s_load_dwordx4 s[0:3], s[4:5], 0x38
	s_load_dwordx2 s[24:25], s[4:5], 0x48
	s_load_dword s7, s[4:5], 0x7c
	v_mov_b32_e32 v6, s15
	s_waitcnt lgkmcnt(0)
	s_mul_i32 s3, s10, s3
	s_mul_hi_u32 s4, s10, s2
	s_add_i32 s3, s4, s3
	s_mul_i32 s4, s8, s25
	s_mul_hi_u32 s5, s8, s24
	s_add_i32 s9, s5, s4
	s_and_b32 s4, s7, 0xffff
	s_add_u32 s5, s22, s18
	s_mul_i32 s2, s10, s2
	s_addc_u32 s10, s23, s19
	s_add_u32 s11, s20, 1
	s_addc_u32 s18, s21, 0
	s_mul_i32 s18, s18, s6
	s_mul_hi_u32 s19, s11, s6
	s_add_i32 s19, s19, s18
	s_mul_i32 s11, s11, s6
	s_add_u32 s5, s5, s11
	s_mul_i32 s8, s8, s24
	s_addc_u32 s10, s10, s19
	v_add_co_u32_e32 v4, vcc, s5, v0
	s_lshl_b32 s5, s4, 1
	s_add_u32 s2, s8, s2
	s_addc_u32 s3, s9, s3
	s_add_u32 s0, s0, 1
	v_mov_b32_e32 v1, s10
	s_addc_u32 s1, s1, 0
	v_addc_co_u32_e32 v5, vcc, 0, v1, vcc
	s_mul_i32 s1, s1, s6
	s_mul_hi_u32 s8, s0, s6
	v_lshlrev_b64 v[4:5], 1, v[4:5]
	s_add_i32 s8, s8, s1
	s_mul_i32 s0, s0, s6
	v_add_co_u32_e32 v1, vcc, s14, v4
	s_add_u32 s0, s2, s0
	v_addc_co_u32_e32 v4, vcc, v6, v5, vcc
	s_addc_u32 s1, s3, s8
	v_mov_b32_e32 v5, s1
	v_add_co_u32_e32 v6, vcc, s0, v0
	v_addc_co_u32_e32 v7, vcc, 0, v5, vcc
	v_lshlrev_b64 v[6:7], 1, v[6:7]
	s_mov_b32 s7, 0
	v_mov_b32_e32 v5, s13
	v_add_co_u32_e32 v0, vcc, s12, v6
	v_addc_co_u32_e32 v5, vcc, v5, v7, vcc
	s_mov_b64 s[0:1], 2
	s_mov_b64 s[2:3], 0
	v_mov_b32_e32 v6, s7
.LBB7_15:                               ; =>This Inner Loop Header: Depth=1
	v_mov_b32_e32 v7, s1
	v_add_co_u32_e32 v8, vcc, s0, v0
	v_addc_co_u32_e32 v9, vcc, v5, v7, vcc
	global_load_ushort v10, v[8:9], off
	v_add_co_u32_e32 v2, vcc, s4, v2
	v_addc_co_u32_e32 v3, vcc, v3, v6, vcc
	v_add_co_u32_e32 v8, vcc, s0, v1
	s_add_u32 s0, s0, s5
	v_addc_co_u32_e32 v9, vcc, v4, v7, vcc
	s_addc_u32 s1, s1, 0
	v_cmp_le_i64_e32 vcc, s[16:17], v[2:3]
	s_or_b64 s[2:3], vcc, s[2:3]
	s_waitcnt vmcnt(0)
	global_store_short v[8:9], v10, off
	s_andn2_b64 exec, exec, s[2:3]
	s_cbranch_execnz .LBB7_15
.LBB7_16:
	s_endpgm
	.section	.rodata,"a",@progbits
	.p2align	6, 0x0
	.amdhsa_kernel _ZL10tri_kernelI6__halfLb0ELi1EEvPKT_PS1_llllllllllll
		.amdhsa_group_segment_fixed_size 0
		.amdhsa_private_segment_fixed_size 0
		.amdhsa_kernarg_size 368
		.amdhsa_user_sgpr_count 6
		.amdhsa_user_sgpr_private_segment_buffer 1
		.amdhsa_user_sgpr_dispatch_ptr 0
		.amdhsa_user_sgpr_queue_ptr 0
		.amdhsa_user_sgpr_kernarg_segment_ptr 1
		.amdhsa_user_sgpr_dispatch_id 0
		.amdhsa_user_sgpr_flat_scratch_init 0
		.amdhsa_user_sgpr_kernarg_preload_length 0
		.amdhsa_user_sgpr_kernarg_preload_offset 0
		.amdhsa_user_sgpr_private_segment_size 0
		.amdhsa_uses_dynamic_stack 0
		.amdhsa_system_sgpr_private_segment_wavefront_offset 0
		.amdhsa_system_sgpr_workgroup_id_x 1
		.amdhsa_system_sgpr_workgroup_id_y 1
		.amdhsa_system_sgpr_workgroup_id_z 1
		.amdhsa_system_sgpr_workgroup_info 0
		.amdhsa_system_vgpr_workitem_id 0
		.amdhsa_next_free_vgpr 16
		.amdhsa_next_free_sgpr 40
		.amdhsa_accum_offset 16
		.amdhsa_reserve_vcc 1
		.amdhsa_reserve_flat_scratch 0
		.amdhsa_float_round_mode_32 0
		.amdhsa_float_round_mode_16_64 0
		.amdhsa_float_denorm_mode_32 3
		.amdhsa_float_denorm_mode_16_64 3
		.amdhsa_dx10_clamp 1
		.amdhsa_ieee_mode 1
		.amdhsa_fp16_overflow 0
		.amdhsa_tg_split 0
		.amdhsa_exception_fp_ieee_invalid_op 0
		.amdhsa_exception_fp_denorm_src 0
		.amdhsa_exception_fp_ieee_div_zero 0
		.amdhsa_exception_fp_ieee_overflow 0
		.amdhsa_exception_fp_ieee_underflow 0
		.amdhsa_exception_fp_ieee_inexact 0
		.amdhsa_exception_int_div_zero 0
	.end_amdhsa_kernel
	.section	.text._ZL10tri_kernelI6__halfLb0ELi1EEvPKT_PS1_llllllllllll,"axG",@progbits,_ZL10tri_kernelI6__halfLb0ELi1EEvPKT_PS1_llllllllllll,comdat
.Lfunc_end7:
	.size	_ZL10tri_kernelI6__halfLb0ELi1EEvPKT_PS1_llllllllllll, .Lfunc_end7-_ZL10tri_kernelI6__halfLb0ELi1EEvPKT_PS1_llllllllllll
                                        ; -- End function
	.section	.AMDGPU.csdata,"",@progbits
; Kernel info:
; codeLenInByte = 1688
; NumSgprs: 44
; NumVgprs: 16
; NumAgprs: 0
; TotalNumVgprs: 16
; ScratchSize: 0
; MemoryBound: 0
; FloatMode: 240
; IeeeMode: 1
; LDSByteSize: 0 bytes/workgroup (compile time only)
; SGPRBlocks: 5
; VGPRBlocks: 1
; NumSGPRsForWavesPerEU: 44
; NumVGPRsForWavesPerEU: 16
; AccumOffset: 16
; Occupancy: 8
; WaveLimiterHint : 0
; COMPUTE_PGM_RSRC2:SCRATCH_EN: 0
; COMPUTE_PGM_RSRC2:USER_SGPR: 6
; COMPUTE_PGM_RSRC2:TRAP_HANDLER: 0
; COMPUTE_PGM_RSRC2:TGID_X_EN: 1
; COMPUTE_PGM_RSRC2:TGID_Y_EN: 1
; COMPUTE_PGM_RSRC2:TGID_Z_EN: 1
; COMPUTE_PGM_RSRC2:TIDIG_COMP_CNT: 0
; COMPUTE_PGM_RSRC3_GFX90A:ACCUM_OFFSET: 3
; COMPUTE_PGM_RSRC3_GFX90A:TG_SPLIT: 0
	.section	.text._ZL10tri_kernelI14__hip_bfloat16Lb1ELi0EEvPKT_PS1_llllllllllll,"axG",@progbits,_ZL10tri_kernelI14__hip_bfloat16Lb1ELi0EEvPKT_PS1_llllllllllll,comdat
	.globl	_ZL10tri_kernelI14__hip_bfloat16Lb1ELi0EEvPKT_PS1_llllllllllll ; -- Begin function _ZL10tri_kernelI14__hip_bfloat16Lb1ELi0EEvPKT_PS1_llllllllllll
	.p2align	8
	.type	_ZL10tri_kernelI14__hip_bfloat16Lb1ELi0EEvPKT_PS1_llllllllllll,@function
_ZL10tri_kernelI14__hip_bfloat16Lb1ELi0EEvPKT_PS1_llllllllllll: ; @_ZL10tri_kernelI14__hip_bfloat16Lb1ELi0EEvPKT_PS1_llllllllllll
; %bb.0:
	s_load_dwordx8 s[12:19], s[4:5], 0x0
	s_load_dwordx4 s[0:3], s[4:5], 0x20
	s_mov_b32 s9, 0
	s_mov_b32 s20, s7
	;; [unrolled: 1-line block ×3, first 2 shown]
	s_waitcnt lgkmcnt(0)
	v_mov_b32_e32 v2, s18
	v_mov_b32_e32 v4, s0
	;; [unrolled: 1-line block ×6, first 2 shown]
	s_mov_b32 s7, s9
	v_cmp_ge_i64_e32 vcc, s[8:9], v[6:7]
	v_cmp_ge_i64_e64 s[0:1], s[20:21], v[4:5]
	s_or_b64 s[0:1], s[0:1], vcc
	v_cmp_ge_i64_e32 vcc, s[6:7], v[2:3]
	s_or_b64 s[0:1], vcc, s[0:1]
	s_and_b64 vcc, exec, s[0:1]
	s_cbranch_vccnz .LBB8_16
; %bb.1:
	s_load_dwordx4 s[24:27], s[4:5], 0x58
	s_load_dwordx2 s[0:1], s[4:5], 0x68
	v_mov_b32_e32 v1, 0
	v_cmp_gt_u32_e32 vcc, s6, v0
	s_waitcnt lgkmcnt(0)
	s_mul_i32 s3, s6, s25
	s_mul_hi_u32 s9, s6, s24
	s_mul_i32 s10, s20, s27
	s_add_i32 s3, s9, s3
	s_mul_hi_u32 s9, s20, s26
	s_add_i32 s11, s9, s10
	s_mul_i32 s1, s8, s1
	s_mul_hi_u32 s9, s8, s0
	s_mul_i32 s2, s6, s24
	s_mul_i32 s10, s20, s26
	s_add_i32 s19, s9, s1
	s_mul_i32 s18, s8, s0
	s_and_saveexec_b64 s[0:1], vcc
	s_cbranch_execz .LBB8_4
; %bb.2:
	s_load_dword s9, s[4:5], 0x7c
	s_load_dwordx4 s[24:27], s[4:5], 0x38
	s_load_dwordx2 s[28:29], s[4:5], 0x48
	s_lshl_b64 s[22:23], s[18:19], 1
	s_lshl_b64 s[30:31], s[10:11], 1
	s_waitcnt lgkmcnt(0)
	s_and_b32 s21, s9, 0xffff
	s_add_u32 s9, s22, s30
	s_addc_u32 s30, s23, s31
	s_lshl_b64 s[22:23], s[2:3], 1
	s_add_u32 s9, s9, s22
	s_addc_u32 s22, s30, s23
	v_lshlrev_b32_e32 v2, 1, v0
	s_add_u32 s9, s14, s9
	v_add_co_u32_e32 v4, vcc, s9, v2
	s_mul_i32 s9, s29, s8
	s_mul_hi_u32 s23, s28, s8
	s_addc_u32 s22, s15, s22
	s_add_i32 s9, s23, s9
	s_mul_i32 s23, s27, s20
	s_mul_hi_u32 s27, s26, s20
	s_mul_i32 s8, s28, s8
	s_add_i32 s27, s27, s23
	s_mul_i32 s26, s26, s20
	v_mov_b32_e32 v3, s22
	s_lshl_b32 s22, s21, 1
	s_lshl_b64 s[8:9], s[8:9], 1
	s_lshl_b64 s[26:27], s[26:27], 1
	s_add_u32 s20, s8, s26
	s_addc_u32 s23, s9, s27
	s_mul_i32 s8, s25, s6
	s_mul_hi_u32 s9, s24, s6
	s_add_i32 s9, s9, s8
	s_mul_i32 s8, s24, s6
	s_lshl_b64 s[8:9], s[8:9], 1
	s_add_u32 s8, s20, s8
	s_addc_u32 s9, s23, s9
	s_add_u32 s8, s12, s8
	v_addc_co_u32_e32 v5, vcc, 0, v3, vcc
	s_addc_u32 s9, s13, s9
	s_mov_b32 s33, 0
	v_mov_b32_e32 v3, s9
	v_add_co_u32_e32 v6, vcc, s8, v2
	v_addc_co_u32_e32 v7, vcc, 0, v3, vcc
	s_mov_b64 s[8:9], 0
	v_mov_b32_e32 v8, s33
	s_mov_b64 s[12:13], 0
	v_pk_mov_b32 v[2:3], v[0:1], v[0:1] op_sel:[0,1]
.LBB8_3:                                ; =>This Inner Loop Header: Depth=1
	v_mov_b32_e32 v1, s13
	v_add_co_u32_e32 v10, vcc, s12, v6
	v_addc_co_u32_e32 v11, vcc, v7, v1, vcc
	global_load_ushort v9, v[10:11], off
	v_add_co_u32_e32 v2, vcc, s21, v2
	v_addc_co_u32_e32 v3, vcc, v3, v8, vcc
	v_add_co_u32_e32 v10, vcc, s12, v4
	s_add_u32 s12, s12, s22
	v_addc_co_u32_e32 v11, vcc, v5, v1, vcc
	s_addc_u32 s13, s13, 0
	v_cmp_le_u64_e32 vcc, s[6:7], v[2:3]
	s_or_b64 s[8:9], vcc, s[8:9]
	s_waitcnt vmcnt(0)
	global_store_short v[10:11], v9, off
	s_andn2_b64 exec, exec, s[8:9]
	s_cbranch_execnz .LBB8_3
.LBB8_4:
	s_or_b64 exec, exec, s[0:1]
	v_mov_b32_e32 v1, s7
	v_add_co_u32_e32 v0, vcc, s6, v0
	v_addc_co_u32_e32 v1, vcc, 0, v1, vcc
	v_cmp_gt_i64_e32 vcc, s[16:17], v[0:1]
	s_and_saveexec_b64 s[0:1], vcc
	s_cbranch_execz .LBB8_16
; %bb.5:
	s_load_dword s0, s[4:5], 0x7c
	v_mov_b32_e32 v2, s17
	s_mov_b32 s9, 0
	s_waitcnt lgkmcnt(0)
	s_and_b32 s8, s0, 0xffff
	v_add_co_u32_e32 v4, vcc, s8, v0
	v_addc_co_u32_e32 v5, vcc, 0, v1, vcc
	v_cmp_gt_i64_e32 vcc, s[16:17], v[4:5]
	v_cndmask_b32_e32 v6, v5, v2, vcc
	v_mov_b32_e32 v2, s16
	v_cndmask_b32_e32 v3, v4, v2, vcc
	v_cndmask_b32_e64 v2, 0, 1, vcc
	v_add_co_u32_e32 v4, vcc, v4, v2
	v_addc_co_u32_e32 v5, vcc, 0, v5, vcc
	v_sub_co_u32_e32 v3, vcc, v3, v4
	v_subb_co_u32_e32 v5, vcc, v6, v5, vcc
	v_mov_b32_e32 v4, 0
	v_cmp_ne_u64_e32 vcc, 0, v[4:5]
                                        ; implicit-def: $vgpr6_vgpr7
	s_and_saveexec_b64 s[0:1], vcc
	s_xor_b64 s[4:5], exec, s[0:1]
	s_cbranch_execz .LBB8_7
; %bb.6:
	v_cvt_f32_u32_e32 v4, s8
	v_mov_b32_e32 v6, 0x4f800000
	s_sub_u32 s0, 0, s8
	s_subb_u32 s1, 0, 0
	v_mac_f32_e32 v4, 0, v6
	v_rcp_f32_e32 v4, v4
	v_mul_f32_e32 v4, 0x5f7ffffc, v4
	v_mul_f32_e32 v6, 0x2f800000, v4
	v_trunc_f32_e32 v6, v6
	v_madmk_f32 v4, v6, 0xcf800000, v4
	v_cvt_u32_f32_e32 v6, v6
	v_cvt_u32_f32_e32 v4, v4
	v_mul_lo_u32 v7, s0, v6
	v_mul_hi_u32 v9, s0, v4
	v_mul_lo_u32 v8, s1, v4
	v_add_u32_e32 v7, v9, v7
	v_mul_lo_u32 v10, s0, v4
	v_add_u32_e32 v7, v7, v8
	v_mul_hi_u32 v9, v4, v10
	v_mul_lo_u32 v11, v4, v7
	v_mul_hi_u32 v8, v4, v7
	v_add_co_u32_e32 v9, vcc, v9, v11
	v_addc_co_u32_e32 v8, vcc, 0, v8, vcc
	v_mul_hi_u32 v12, v6, v10
	v_mul_lo_u32 v10, v6, v10
	v_add_co_u32_e32 v9, vcc, v9, v10
	v_mul_hi_u32 v11, v6, v7
	v_addc_co_u32_e32 v8, vcc, v8, v12, vcc
	v_addc_co_u32_e32 v9, vcc, 0, v11, vcc
	v_mul_lo_u32 v7, v6, v7
	v_add_co_u32_e32 v7, vcc, v8, v7
	v_addc_co_u32_e32 v8, vcc, 0, v9, vcc
	v_add_co_u32_e32 v4, vcc, v4, v7
	v_addc_co_u32_e32 v6, vcc, v6, v8, vcc
	v_mul_lo_u32 v7, s0, v6
	v_mul_hi_u32 v8, s0, v4
	v_add_u32_e32 v7, v8, v7
	v_mul_lo_u32 v8, s1, v4
	v_add_u32_e32 v7, v7, v8
	v_mul_lo_u32 v9, s0, v4
	v_mul_hi_u32 v10, v6, v9
	v_mul_lo_u32 v11, v6, v9
	v_mul_lo_u32 v13, v4, v7
	v_mul_hi_u32 v9, v4, v9
	v_mul_hi_u32 v12, v4, v7
	v_add_co_u32_e32 v9, vcc, v9, v13
	v_addc_co_u32_e32 v12, vcc, 0, v12, vcc
	v_add_co_u32_e32 v9, vcc, v9, v11
	v_mul_hi_u32 v8, v6, v7
	v_addc_co_u32_e32 v9, vcc, v12, v10, vcc
	v_addc_co_u32_e32 v8, vcc, 0, v8, vcc
	v_mul_lo_u32 v7, v6, v7
	v_add_co_u32_e32 v7, vcc, v9, v7
	v_addc_co_u32_e32 v8, vcc, 0, v8, vcc
	v_add_co_u32_e32 v4, vcc, v4, v7
	v_addc_co_u32_e32 v8, vcc, v6, v8, vcc
	v_mad_u64_u32 v[6:7], s[0:1], v3, v8, 0
	v_mul_hi_u32 v9, v3, v4
	v_add_co_u32_e32 v10, vcc, v9, v6
	v_addc_co_u32_e32 v11, vcc, 0, v7, vcc
	v_mad_u64_u32 v[6:7], s[0:1], v5, v8, 0
	v_mad_u64_u32 v[8:9], s[0:1], v5, v4, 0
	v_add_co_u32_e32 v4, vcc, v10, v8
	v_addc_co_u32_e32 v4, vcc, v11, v9, vcc
	v_addc_co_u32_e32 v7, vcc, 0, v7, vcc
	v_add_co_u32_e32 v10, vcc, v4, v6
	v_addc_co_u32_e32 v11, vcc, 0, v7, vcc
	v_mad_u64_u32 v[6:7], s[0:1], s8, v10, 0
	v_mov_b32_e32 v4, v7
	v_mad_u64_u32 v[8:9], s[0:1], s8, v11, v[4:5]
	v_sub_co_u32_e32 v3, vcc, v3, v6
	v_subb_co_u32_e32 v4, vcc, v5, v8, vcc
	v_subrev_co_u32_e32 v5, vcc, s8, v3
	v_subbrev_co_u32_e32 v6, vcc, 0, v4, vcc
	v_cmp_le_u32_e32 vcc, s8, v5
	v_cndmask_b32_e64 v5, 0, -1, vcc
	v_cmp_eq_u32_e32 vcc, 0, v6
	v_cndmask_b32_e32 v5, -1, v5, vcc
	v_add_co_u32_e32 v6, vcc, 2, v10
	v_addc_co_u32_e32 v7, vcc, 0, v11, vcc
	v_add_co_u32_e32 v8, vcc, 1, v10
	v_cmp_le_u32_e64 s[0:1], s8, v3
	v_addc_co_u32_e32 v9, vcc, 0, v11, vcc
	v_cndmask_b32_e64 v3, 0, -1, s[0:1]
	v_cmp_eq_u32_e64 s[0:1], 0, v4
	v_cmp_ne_u32_e32 vcc, 0, v5
	v_cndmask_b32_e64 v3, -1, v3, s[0:1]
	v_cndmask_b32_e32 v5, v9, v7, vcc
	v_cmp_ne_u32_e64 s[0:1], 0, v3
	v_cndmask_b32_e32 v3, v8, v6, vcc
	v_cndmask_b32_e64 v7, v11, v5, s[0:1]
	v_cndmask_b32_e64 v6, v10, v3, s[0:1]
                                        ; implicit-def: $vgpr3
.LBB8_7:
	s_andn2_saveexec_b64 s[0:1], s[4:5]
	s_cbranch_execz .LBB8_9
; %bb.8:
	v_cvt_f32_u32_e32 v4, s8
	s_sub_i32 s4, 0, s8
	v_mov_b32_e32 v7, 0
	v_rcp_iflag_f32_e32 v4, v4
	v_mul_f32_e32 v4, 0x4f7ffffe, v4
	v_cvt_u32_f32_e32 v4, v4
	v_mul_lo_u32 v5, s4, v4
	v_mul_hi_u32 v5, v4, v5
	v_add_u32_e32 v4, v4, v5
	v_mul_hi_u32 v4, v3, v4
	v_mul_lo_u32 v5, v4, s8
	v_sub_u32_e32 v3, v3, v5
	v_add_u32_e32 v6, 1, v4
	v_subrev_u32_e32 v5, s8, v3
	v_cmp_le_u32_e32 vcc, s8, v3
	v_cndmask_b32_e32 v3, v3, v5, vcc
	v_cndmask_b32_e32 v4, v4, v6, vcc
	v_add_u32_e32 v5, 1, v4
	v_cmp_le_u32_e32 vcc, s8, v3
	v_cndmask_b32_e32 v6, v4, v5, vcc
.LBB8_9:
	s_or_b64 exec, exec, s[0:1]
	v_add_co_u32_e32 v2, vcc, v6, v2
	v_addc_co_u32_e32 v3, vcc, 0, v7, vcc
	v_add_co_u32_e32 v2, vcc, 1, v2
	v_addc_co_u32_e32 v3, vcc, 0, v3, vcc
	v_cmp_lt_u64_e32 vcc, 3, v[2:3]
	v_cmp_eq_u16_e64 s[0:1], s8, 1
	s_and_b64 s[6:7], vcc, s[0:1]
	s_mov_b64 s[0:1], -1
	s_and_saveexec_b64 s[4:5], s[6:7]
	s_cbranch_execz .LBB8_13
; %bb.10:
	s_lshl_b64 s[0:1], s[2:3], 1
	s_add_u32 s6, s14, s0
	s_addc_u32 s7, s15, s1
	s_lshl_b64 s[0:1], s[10:11], 1
	s_add_u32 s6, s6, s0
	s_addc_u32 s7, s7, s1
	;; [unrolled: 3-line block ×3, first 2 shown]
	v_lshlrev_b64 v[6:7], 1, v[0:1]
	v_mov_b32_e32 v8, s1
	v_add_co_u32_e32 v6, vcc, s0, v6
	v_and_b32_e32 v4, -4, v2
	v_mov_b32_e32 v5, v3
	v_addc_co_u32_e32 v7, vcc, v8, v7, vcc
	s_mov_b32 s0, 0
	v_mov_b32_e32 v8, 0
	s_lshl_b32 s12, s8, 3
	s_mov_b64 s[6:7], 0
	v_mov_b32_e32 v9, v8
	v_mov_b32_e32 v12, s0
	v_pk_mov_b32 v[10:11], v[4:5], v[4:5] op_sel:[0,1]
.LBB8_11:                               ; =>This Inner Loop Header: Depth=1
	v_add_co_u32_e32 v10, vcc, -4, v10
	v_addc_co_u32_e32 v11, vcc, -1, v11, vcc
	global_store_dwordx2 v[6:7], v[8:9], off
	v_add_co_u32_e32 v6, vcc, s12, v6
	v_cmp_eq_u64_e64 s[0:1], 0, v[10:11]
	s_or_b64 s[6:7], s[0:1], s[6:7]
	v_addc_co_u32_e32 v7, vcc, v7, v12, vcc
	s_andn2_b64 exec, exec, s[6:7]
	s_cbranch_execnz .LBB8_11
; %bb.12:
	s_or_b64 exec, exec, s[6:7]
	v_mad_u64_u32 v[0:1], s[0:1], v4, s8, v[0:1]
	v_mov_b32_e32 v6, v1
	v_mad_u64_u32 v[6:7], s[0:1], v5, s8, v[6:7]
	v_cmp_ne_u64_e32 vcc, v[2:3], v[4:5]
	v_mov_b32_e32 v1, v6
	s_orn2_b64 s[0:1], vcc, exec
.LBB8_13:
	s_or_b64 exec, exec, s[4:5]
	s_and_b64 exec, exec, s[0:1]
	s_cbranch_execz .LBB8_16
; %bb.14:
	s_lshl_b64 s[0:1], s[18:19], 1
	s_lshl_b64 s[4:5], s[10:11], 1
	s_add_u32 s4, s0, s4
	s_addc_u32 s5, s1, s5
	s_lshl_b64 s[0:1], s[2:3], 1
	s_add_u32 s0, s4, s0
	s_addc_u32 s1, s5, s1
	s_add_u32 s0, s14, s0
	v_lshlrev_b64 v[2:3], 1, v[0:1]
	s_addc_u32 s1, s15, s1
	v_mov_b32_e32 v4, s1
	v_add_co_u32_e32 v2, vcc, s0, v2
	s_mov_b32 s0, 0
	v_addc_co_u32_e32 v3, vcc, v4, v3, vcc
	s_lshl_b32 s4, s8, 1
	s_mov_b64 s[2:3], 0
	v_mov_b32_e32 v4, 0
	v_mov_b32_e32 v5, s9
	;; [unrolled: 1-line block ×3, first 2 shown]
.LBB8_15:                               ; =>This Inner Loop Header: Depth=1
	v_add_co_u32_e32 v0, vcc, s8, v0
	v_addc_co_u32_e32 v1, vcc, v1, v5, vcc
	global_store_short v[2:3], v4, off
	v_add_co_u32_e32 v2, vcc, s4, v2
	v_cmp_le_i64_e64 s[0:1], s[16:17], v[0:1]
	s_or_b64 s[2:3], s[0:1], s[2:3]
	v_addc_co_u32_e32 v3, vcc, v3, v6, vcc
	s_andn2_b64 exec, exec, s[2:3]
	s_cbranch_execnz .LBB8_15
.LBB8_16:
	s_endpgm
	.section	.rodata,"a",@progbits
	.p2align	6, 0x0
	.amdhsa_kernel _ZL10tri_kernelI14__hip_bfloat16Lb1ELi0EEvPKT_PS1_llllllllllll
		.amdhsa_group_segment_fixed_size 0
		.amdhsa_private_segment_fixed_size 0
		.amdhsa_kernarg_size 368
		.amdhsa_user_sgpr_count 6
		.amdhsa_user_sgpr_private_segment_buffer 1
		.amdhsa_user_sgpr_dispatch_ptr 0
		.amdhsa_user_sgpr_queue_ptr 0
		.amdhsa_user_sgpr_kernarg_segment_ptr 1
		.amdhsa_user_sgpr_dispatch_id 0
		.amdhsa_user_sgpr_flat_scratch_init 0
		.amdhsa_user_sgpr_kernarg_preload_length 0
		.amdhsa_user_sgpr_kernarg_preload_offset 0
		.amdhsa_user_sgpr_private_segment_size 0
		.amdhsa_uses_dynamic_stack 0
		.amdhsa_system_sgpr_private_segment_wavefront_offset 0
		.amdhsa_system_sgpr_workgroup_id_x 1
		.amdhsa_system_sgpr_workgroup_id_y 1
		.amdhsa_system_sgpr_workgroup_id_z 1
		.amdhsa_system_sgpr_workgroup_info 0
		.amdhsa_system_vgpr_workitem_id 0
		.amdhsa_next_free_vgpr 14
		.amdhsa_next_free_sgpr 34
		.amdhsa_accum_offset 16
		.amdhsa_reserve_vcc 1
		.amdhsa_reserve_flat_scratch 0
		.amdhsa_float_round_mode_32 0
		.amdhsa_float_round_mode_16_64 0
		.amdhsa_float_denorm_mode_32 3
		.amdhsa_float_denorm_mode_16_64 3
		.amdhsa_dx10_clamp 1
		.amdhsa_ieee_mode 1
		.amdhsa_fp16_overflow 0
		.amdhsa_tg_split 0
		.amdhsa_exception_fp_ieee_invalid_op 0
		.amdhsa_exception_fp_denorm_src 0
		.amdhsa_exception_fp_ieee_div_zero 0
		.amdhsa_exception_fp_ieee_overflow 0
		.amdhsa_exception_fp_ieee_underflow 0
		.amdhsa_exception_fp_ieee_inexact 0
		.amdhsa_exception_int_div_zero 0
	.end_amdhsa_kernel
	.section	.text._ZL10tri_kernelI14__hip_bfloat16Lb1ELi0EEvPKT_PS1_llllllllllll,"axG",@progbits,_ZL10tri_kernelI14__hip_bfloat16Lb1ELi0EEvPKT_PS1_llllllllllll,comdat
.Lfunc_end8:
	.size	_ZL10tri_kernelI14__hip_bfloat16Lb1ELi0EEvPKT_PS1_llllllllllll, .Lfunc_end8-_ZL10tri_kernelI14__hip_bfloat16Lb1ELi0EEvPKT_PS1_llllllllllll
                                        ; -- End function
	.section	.AMDGPU.csdata,"",@progbits
; Kernel info:
; codeLenInByte = 1588
; NumSgprs: 38
; NumVgprs: 14
; NumAgprs: 0
; TotalNumVgprs: 14
; ScratchSize: 0
; MemoryBound: 0
; FloatMode: 240
; IeeeMode: 1
; LDSByteSize: 0 bytes/workgroup (compile time only)
; SGPRBlocks: 4
; VGPRBlocks: 1
; NumSGPRsForWavesPerEU: 38
; NumVGPRsForWavesPerEU: 14
; AccumOffset: 16
; Occupancy: 8
; WaveLimiterHint : 0
; COMPUTE_PGM_RSRC2:SCRATCH_EN: 0
; COMPUTE_PGM_RSRC2:USER_SGPR: 6
; COMPUTE_PGM_RSRC2:TRAP_HANDLER: 0
; COMPUTE_PGM_RSRC2:TGID_X_EN: 1
; COMPUTE_PGM_RSRC2:TGID_Y_EN: 1
; COMPUTE_PGM_RSRC2:TGID_Z_EN: 1
; COMPUTE_PGM_RSRC2:TIDIG_COMP_CNT: 0
; COMPUTE_PGM_RSRC3_GFX90A:ACCUM_OFFSET: 3
; COMPUTE_PGM_RSRC3_GFX90A:TG_SPLIT: 0
	.section	.text._ZL10tri_kernelI14__hip_bfloat16Lb1ELi1EEvPKT_PS1_llllllllllll,"axG",@progbits,_ZL10tri_kernelI14__hip_bfloat16Lb1ELi1EEvPKT_PS1_llllllllllll,comdat
	.globl	_ZL10tri_kernelI14__hip_bfloat16Lb1ELi1EEvPKT_PS1_llllllllllll ; -- Begin function _ZL10tri_kernelI14__hip_bfloat16Lb1ELi1EEvPKT_PS1_llllllllllll
	.p2align	8
	.type	_ZL10tri_kernelI14__hip_bfloat16Lb1ELi1EEvPKT_PS1_llllllllllll,@function
_ZL10tri_kernelI14__hip_bfloat16Lb1ELi1EEvPKT_PS1_llllllllllll: ; @_ZL10tri_kernelI14__hip_bfloat16Lb1ELi1EEvPKT_PS1_llllllllllll
; %bb.0:
	s_load_dwordx8 s[12:19], s[4:5], 0x0
	s_load_dwordx4 s[0:3], s[4:5], 0x20
	s_mov_b32 s9, 0
	s_mov_b32 s20, s7
	;; [unrolled: 1-line block ×3, first 2 shown]
	s_waitcnt lgkmcnt(0)
	v_mov_b32_e32 v2, s18
	v_mov_b32_e32 v4, s0
	v_mov_b32_e32 v5, s1
	v_mov_b32_e32 v6, s2
	v_mov_b32_e32 v7, s3
	v_mov_b32_e32 v3, s19
	s_mov_b32 s7, s9
	v_cmp_ge_i64_e32 vcc, s[8:9], v[6:7]
	v_cmp_ge_i64_e64 s[0:1], s[20:21], v[4:5]
	s_or_b64 s[0:1], s[0:1], vcc
	v_cmp_ge_i64_e32 vcc, s[6:7], v[2:3]
	s_or_b64 s[0:1], vcc, s[0:1]
	s_and_b64 vcc, exec, s[0:1]
	s_cbranch_vccnz .LBB9_16
; %bb.1:
	s_load_dwordx4 s[24:27], s[4:5], 0x58
	s_load_dwordx2 s[0:1], s[4:5], 0x68
	v_mov_b32_e32 v1, 0
	v_cmp_ge_u32_e32 vcc, s6, v0
	s_waitcnt lgkmcnt(0)
	s_mul_i32 s3, s6, s25
	s_mul_hi_u32 s9, s6, s24
	s_mul_i32 s10, s20, s27
	s_add_i32 s3, s9, s3
	s_mul_hi_u32 s9, s20, s26
	s_add_i32 s11, s9, s10
	s_mul_i32 s1, s8, s1
	s_mul_hi_u32 s9, s8, s0
	s_mul_i32 s2, s6, s24
	s_mul_i32 s10, s20, s26
	s_add_i32 s19, s9, s1
	s_mul_i32 s18, s8, s0
	s_and_saveexec_b64 s[0:1], vcc
	s_cbranch_execz .LBB9_4
; %bb.2:
	s_load_dword s9, s[4:5], 0x7c
	s_load_dwordx4 s[24:27], s[4:5], 0x38
	s_load_dwordx2 s[28:29], s[4:5], 0x48
	s_lshl_b64 s[22:23], s[18:19], 1
	s_lshl_b64 s[30:31], s[10:11], 1
	s_waitcnt lgkmcnt(0)
	s_and_b32 s21, s9, 0xffff
	s_add_u32 s9, s22, s30
	s_addc_u32 s30, s23, s31
	s_lshl_b64 s[22:23], s[2:3], 1
	s_add_u32 s9, s9, s22
	s_addc_u32 s22, s30, s23
	v_lshlrev_b32_e32 v2, 1, v0
	s_add_u32 s9, s14, s9
	v_add_co_u32_e32 v4, vcc, s9, v2
	s_mul_i32 s9, s29, s8
	s_mul_hi_u32 s23, s28, s8
	s_addc_u32 s22, s15, s22
	s_add_i32 s9, s23, s9
	s_mul_i32 s23, s27, s20
	s_mul_hi_u32 s27, s26, s20
	s_mul_i32 s8, s28, s8
	s_add_i32 s27, s27, s23
	s_mul_i32 s26, s26, s20
	v_mov_b32_e32 v3, s22
	s_lshl_b32 s22, s21, 1
	s_lshl_b64 s[8:9], s[8:9], 1
	s_lshl_b64 s[26:27], s[26:27], 1
	s_add_u32 s20, s8, s26
	s_addc_u32 s23, s9, s27
	s_mul_i32 s8, s25, s6
	s_mul_hi_u32 s9, s24, s6
	s_add_i32 s9, s9, s8
	s_mul_i32 s8, s24, s6
	s_lshl_b64 s[8:9], s[8:9], 1
	s_add_u32 s8, s20, s8
	s_addc_u32 s9, s23, s9
	s_add_u32 s8, s12, s8
	v_addc_co_u32_e32 v5, vcc, 0, v3, vcc
	s_addc_u32 s9, s13, s9
	s_mov_b32 s33, 0
	v_mov_b32_e32 v3, s9
	v_add_co_u32_e32 v6, vcc, s8, v2
	v_addc_co_u32_e32 v7, vcc, 0, v3, vcc
	s_mov_b64 s[8:9], 0
	v_mov_b32_e32 v8, s33
	s_mov_b64 s[12:13], 0
	v_pk_mov_b32 v[2:3], v[0:1], v[0:1] op_sel:[0,1]
.LBB9_3:                                ; =>This Inner Loop Header: Depth=1
	v_mov_b32_e32 v1, s13
	v_add_co_u32_e32 v10, vcc, s12, v6
	v_addc_co_u32_e32 v11, vcc, v7, v1, vcc
	global_load_ushort v9, v[10:11], off
	v_add_co_u32_e32 v2, vcc, s21, v2
	v_addc_co_u32_e32 v3, vcc, v3, v8, vcc
	v_add_co_u32_e32 v10, vcc, s12, v4
	s_add_u32 s12, s12, s22
	v_addc_co_u32_e32 v11, vcc, v5, v1, vcc
	s_addc_u32 s13, s13, 0
	v_cmp_lt_u64_e32 vcc, s[6:7], v[2:3]
	s_or_b64 s[8:9], vcc, s[8:9]
	s_waitcnt vmcnt(0)
	global_store_short v[10:11], v9, off
	s_andn2_b64 exec, exec, s[8:9]
	s_cbranch_execnz .LBB9_3
.LBB9_4:
	s_or_b64 exec, exec, s[0:1]
	s_add_u32 s0, s6, 1
	s_addc_u32 s1, 0, 0
	v_mov_b32_e32 v1, s1
	v_add_co_u32_e32 v2, vcc, s0, v0
	v_addc_co_u32_e32 v3, vcc, 0, v1, vcc
	v_cmp_gt_i64_e32 vcc, s[16:17], v[2:3]
	s_and_saveexec_b64 s[0:1], vcc
	s_cbranch_execz .LBB9_16
; %bb.5:
	s_load_dword s0, s[4:5], 0x7c
	v_mov_b32_e32 v1, s7
	v_add_co_u32_e32 v0, vcc, s6, v0
	v_addc_co_u32_e32 v1, vcc, 0, v1, vcc
	s_waitcnt lgkmcnt(0)
	s_and_b32 s8, s0, 0xffff
	v_add_co_u32_e32 v6, vcc, s8, v0
	v_addc_co_u32_e32 v7, vcc, 0, v1, vcc
	v_add_co_u32_e32 v4, vcc, 1, v6
	v_addc_co_u32_e32 v5, vcc, 0, v7, vcc
	v_mov_b32_e32 v8, s17
	v_cmp_gt_i64_e32 vcc, s[16:17], v[4:5]
	v_cndmask_b32_e32 v5, v5, v8, vcc
	v_mov_b32_e32 v8, s16
	v_cndmask_b32_e32 v4, v4, v8, vcc
	v_add_co_u32_e32 v8, vcc, -1, v4
	v_addc_co_u32_e32 v9, vcc, -1, v5, vcc
	v_cmp_ne_u64_e32 vcc, v[8:9], v[6:7]
	v_cndmask_b32_e64 v4, 0, 1, vcc
	v_add_co_u32_e32 v5, vcc, v6, v4
	v_addc_co_u32_e32 v6, vcc, 0, v7, vcc
	v_sub_co_u32_e32 v5, vcc, v8, v5
	v_subb_co_u32_e32 v7, vcc, v9, v6, vcc
	v_mov_b32_e32 v6, 0
	s_mov_b32 s9, 0
	v_cmp_ne_u64_e32 vcc, 0, v[6:7]
                                        ; implicit-def: $vgpr8_vgpr9
	s_and_saveexec_b64 s[0:1], vcc
	s_xor_b64 s[4:5], exec, s[0:1]
	s_cbranch_execz .LBB9_7
; %bb.6:
	v_cvt_f32_u32_e32 v6, s8
	v_mov_b32_e32 v8, 0x4f800000
	s_sub_u32 s0, 0, s8
	s_subb_u32 s1, 0, 0
	v_mac_f32_e32 v6, 0, v8
	v_rcp_f32_e32 v6, v6
	v_mul_f32_e32 v6, 0x5f7ffffc, v6
	v_mul_f32_e32 v8, 0x2f800000, v6
	v_trunc_f32_e32 v8, v8
	v_madmk_f32 v6, v8, 0xcf800000, v6
	v_cvt_u32_f32_e32 v8, v8
	v_cvt_u32_f32_e32 v6, v6
	v_mul_lo_u32 v9, s0, v8
	v_mul_hi_u32 v11, s0, v6
	v_mul_lo_u32 v10, s1, v6
	v_add_u32_e32 v9, v11, v9
	v_mul_lo_u32 v12, s0, v6
	v_add_u32_e32 v9, v9, v10
	v_mul_hi_u32 v11, v6, v12
	v_mul_lo_u32 v13, v6, v9
	v_mul_hi_u32 v10, v6, v9
	v_add_co_u32_e32 v11, vcc, v11, v13
	v_addc_co_u32_e32 v10, vcc, 0, v10, vcc
	v_mul_hi_u32 v14, v8, v12
	v_mul_lo_u32 v12, v8, v12
	v_add_co_u32_e32 v11, vcc, v11, v12
	v_mul_hi_u32 v13, v8, v9
	v_addc_co_u32_e32 v10, vcc, v10, v14, vcc
	v_addc_co_u32_e32 v11, vcc, 0, v13, vcc
	v_mul_lo_u32 v9, v8, v9
	v_add_co_u32_e32 v9, vcc, v10, v9
	v_addc_co_u32_e32 v10, vcc, 0, v11, vcc
	v_add_co_u32_e32 v6, vcc, v6, v9
	v_addc_co_u32_e32 v8, vcc, v8, v10, vcc
	v_mul_lo_u32 v9, s0, v8
	v_mul_hi_u32 v10, s0, v6
	v_add_u32_e32 v9, v10, v9
	v_mul_lo_u32 v10, s1, v6
	v_add_u32_e32 v9, v9, v10
	v_mul_lo_u32 v11, s0, v6
	v_mul_hi_u32 v12, v8, v11
	v_mul_lo_u32 v13, v8, v11
	v_mul_lo_u32 v15, v6, v9
	v_mul_hi_u32 v11, v6, v11
	v_mul_hi_u32 v14, v6, v9
	v_add_co_u32_e32 v11, vcc, v11, v15
	v_addc_co_u32_e32 v14, vcc, 0, v14, vcc
	v_add_co_u32_e32 v11, vcc, v11, v13
	v_mul_hi_u32 v10, v8, v9
	v_addc_co_u32_e32 v11, vcc, v14, v12, vcc
	v_addc_co_u32_e32 v10, vcc, 0, v10, vcc
	v_mul_lo_u32 v9, v8, v9
	v_add_co_u32_e32 v9, vcc, v11, v9
	v_addc_co_u32_e32 v10, vcc, 0, v10, vcc
	v_add_co_u32_e32 v6, vcc, v6, v9
	v_addc_co_u32_e32 v10, vcc, v8, v10, vcc
	v_mad_u64_u32 v[8:9], s[0:1], v5, v10, 0
	v_mul_hi_u32 v11, v5, v6
	v_add_co_u32_e32 v12, vcc, v11, v8
	v_addc_co_u32_e32 v13, vcc, 0, v9, vcc
	v_mad_u64_u32 v[8:9], s[0:1], v7, v10, 0
	v_mad_u64_u32 v[10:11], s[0:1], v7, v6, 0
	v_add_co_u32_e32 v6, vcc, v12, v10
	v_addc_co_u32_e32 v6, vcc, v13, v11, vcc
	v_addc_co_u32_e32 v9, vcc, 0, v9, vcc
	v_add_co_u32_e32 v12, vcc, v6, v8
	v_addc_co_u32_e32 v13, vcc, 0, v9, vcc
	v_mad_u64_u32 v[8:9], s[0:1], s8, v12, 0
	v_mov_b32_e32 v6, v9
	v_mad_u64_u32 v[10:11], s[0:1], s8, v13, v[6:7]
	v_sub_co_u32_e32 v5, vcc, v5, v8
	v_subb_co_u32_e32 v6, vcc, v7, v10, vcc
	v_subrev_co_u32_e32 v7, vcc, s8, v5
	v_subbrev_co_u32_e32 v8, vcc, 0, v6, vcc
	v_cmp_le_u32_e32 vcc, s8, v7
	v_cndmask_b32_e64 v7, 0, -1, vcc
	v_cmp_eq_u32_e32 vcc, 0, v8
	v_cndmask_b32_e32 v7, -1, v7, vcc
	v_add_co_u32_e32 v8, vcc, 2, v12
	v_addc_co_u32_e32 v9, vcc, 0, v13, vcc
	v_add_co_u32_e32 v10, vcc, 1, v12
	v_cmp_le_u32_e64 s[0:1], s8, v5
	v_addc_co_u32_e32 v11, vcc, 0, v13, vcc
	v_cndmask_b32_e64 v5, 0, -1, s[0:1]
	v_cmp_eq_u32_e64 s[0:1], 0, v6
	v_cmp_ne_u32_e32 vcc, 0, v7
	v_cndmask_b32_e64 v5, -1, v5, s[0:1]
	v_cndmask_b32_e32 v7, v11, v9, vcc
	v_cmp_ne_u32_e64 s[0:1], 0, v5
	v_cndmask_b32_e32 v5, v10, v8, vcc
	v_cndmask_b32_e64 v9, v13, v7, s[0:1]
	v_cndmask_b32_e64 v8, v12, v5, s[0:1]
                                        ; implicit-def: $vgpr5
.LBB9_7:
	s_andn2_saveexec_b64 s[0:1], s[4:5]
	s_cbranch_execz .LBB9_9
; %bb.8:
	v_cvt_f32_u32_e32 v6, s8
	s_sub_i32 s4, 0, s8
	v_mov_b32_e32 v9, 0
	v_rcp_iflag_f32_e32 v6, v6
	v_mul_f32_e32 v6, 0x4f7ffffe, v6
	v_cvt_u32_f32_e32 v6, v6
	v_mul_lo_u32 v7, s4, v6
	v_mul_hi_u32 v7, v6, v7
	v_add_u32_e32 v6, v6, v7
	v_mul_hi_u32 v6, v5, v6
	v_mul_lo_u32 v7, v6, s8
	v_sub_u32_e32 v5, v5, v7
	v_add_u32_e32 v8, 1, v6
	v_subrev_u32_e32 v7, s8, v5
	v_cmp_le_u32_e32 vcc, s8, v5
	v_cndmask_b32_e32 v5, v5, v7, vcc
	v_cndmask_b32_e32 v6, v6, v8, vcc
	v_add_u32_e32 v7, 1, v6
	v_cmp_le_u32_e32 vcc, s8, v5
	v_cndmask_b32_e32 v8, v6, v7, vcc
.LBB9_9:
	s_or_b64 exec, exec, s[0:1]
	v_add_co_u32_e32 v4, vcc, v8, v4
	v_addc_co_u32_e32 v5, vcc, 0, v9, vcc
	v_add_co_u32_e32 v4, vcc, 1, v4
	v_addc_co_u32_e32 v5, vcc, 0, v5, vcc
	v_cmp_lt_u64_e32 vcc, 3, v[4:5]
	v_cmp_eq_u16_e64 s[0:1], s8, 1
	s_and_b64 s[6:7], vcc, s[0:1]
	s_mov_b64 s[0:1], -1
	s_and_saveexec_b64 s[4:5], s[6:7]
	s_cbranch_execz .LBB9_13
; %bb.10:
	s_lshl_b64 s[0:1], s[2:3], 1
	s_add_u32 s6, s14, s0
	s_addc_u32 s7, s15, s1
	s_lshl_b64 s[0:1], s[10:11], 1
	s_add_u32 s6, s6, s0
	s_addc_u32 s7, s7, s1
	;; [unrolled: 3-line block ×3, first 2 shown]
	v_lshlrev_b64 v[0:1], 1, v[0:1]
	v_mov_b32_e32 v8, s1
	v_add_co_u32_e32 v0, vcc, s0, v0
	v_addc_co_u32_e32 v1, vcc, v8, v1, vcc
	v_and_b32_e32 v6, -4, v4
	v_mov_b32_e32 v7, v5
	v_add_co_u32_e32 v0, vcc, 2, v0
	s_mov_b32 s0, 0
	v_mov_b32_e32 v8, 0
	v_addc_co_u32_e32 v1, vcc, 0, v1, vcc
	s_lshl_b32 s12, s8, 3
	s_mov_b64 s[6:7], 0
	v_mov_b32_e32 v9, v8
	v_mov_b32_e32 v12, s0
	v_pk_mov_b32 v[10:11], v[6:7], v[6:7] op_sel:[0,1]
.LBB9_11:                               ; =>This Inner Loop Header: Depth=1
	v_add_co_u32_e32 v10, vcc, -4, v10
	v_addc_co_u32_e32 v11, vcc, -1, v11, vcc
	global_store_dwordx2 v[0:1], v[8:9], off
	v_add_co_u32_e32 v0, vcc, s12, v0
	v_cmp_eq_u64_e64 s[0:1], 0, v[10:11]
	s_or_b64 s[6:7], s[0:1], s[6:7]
	v_addc_co_u32_e32 v1, vcc, v1, v12, vcc
	s_andn2_b64 exec, exec, s[6:7]
	s_cbranch_execnz .LBB9_11
; %bb.12:
	s_or_b64 exec, exec, s[6:7]
	v_mad_u64_u32 v[2:3], s[0:1], v6, s8, v[2:3]
	v_mov_b32_e32 v0, v3
	v_mad_u64_u32 v[0:1], s[0:1], v7, s8, v[0:1]
	v_cmp_ne_u64_e32 vcc, v[4:5], v[6:7]
	v_mov_b32_e32 v3, v0
	s_orn2_b64 s[0:1], vcc, exec
.LBB9_13:
	s_or_b64 exec, exec, s[4:5]
	s_and_b64 exec, exec, s[0:1]
	s_cbranch_execz .LBB9_16
; %bb.14:
	s_lshl_b64 s[0:1], s[18:19], 1
	s_lshl_b64 s[4:5], s[10:11], 1
	s_add_u32 s4, s0, s4
	s_addc_u32 s5, s1, s5
	s_lshl_b64 s[0:1], s[2:3], 1
	s_add_u32 s0, s4, s0
	s_addc_u32 s1, s5, s1
	s_add_u32 s0, s14, s0
	v_lshlrev_b64 v[0:1], 1, v[2:3]
	s_addc_u32 s1, s15, s1
	v_mov_b32_e32 v4, s1
	v_add_co_u32_e32 v0, vcc, s0, v0
	s_mov_b32 s0, 0
	v_addc_co_u32_e32 v1, vcc, v4, v1, vcc
	s_lshl_b32 s4, s8, 1
	s_mov_b64 s[2:3], 0
	v_mov_b32_e32 v4, 0
	v_mov_b32_e32 v5, s9
	v_mov_b32_e32 v6, s0
.LBB9_15:                               ; =>This Inner Loop Header: Depth=1
	v_add_co_u32_e32 v2, vcc, s8, v2
	v_addc_co_u32_e32 v3, vcc, v3, v5, vcc
	global_store_short v[0:1], v4, off
	v_add_co_u32_e32 v0, vcc, s4, v0
	v_cmp_le_i64_e64 s[0:1], s[16:17], v[2:3]
	s_or_b64 s[2:3], s[0:1], s[2:3]
	v_addc_co_u32_e32 v1, vcc, v1, v6, vcc
	s_andn2_b64 exec, exec, s[2:3]
	s_cbranch_execnz .LBB9_15
.LBB9_16:
	s_endpgm
	.section	.rodata,"a",@progbits
	.p2align	6, 0x0
	.amdhsa_kernel _ZL10tri_kernelI14__hip_bfloat16Lb1ELi1EEvPKT_PS1_llllllllllll
		.amdhsa_group_segment_fixed_size 0
		.amdhsa_private_segment_fixed_size 0
		.amdhsa_kernarg_size 368
		.amdhsa_user_sgpr_count 6
		.amdhsa_user_sgpr_private_segment_buffer 1
		.amdhsa_user_sgpr_dispatch_ptr 0
		.amdhsa_user_sgpr_queue_ptr 0
		.amdhsa_user_sgpr_kernarg_segment_ptr 1
		.amdhsa_user_sgpr_dispatch_id 0
		.amdhsa_user_sgpr_flat_scratch_init 0
		.amdhsa_user_sgpr_kernarg_preload_length 0
		.amdhsa_user_sgpr_kernarg_preload_offset 0
		.amdhsa_user_sgpr_private_segment_size 0
		.amdhsa_uses_dynamic_stack 0
		.amdhsa_system_sgpr_private_segment_wavefront_offset 0
		.amdhsa_system_sgpr_workgroup_id_x 1
		.amdhsa_system_sgpr_workgroup_id_y 1
		.amdhsa_system_sgpr_workgroup_id_z 1
		.amdhsa_system_sgpr_workgroup_info 0
		.amdhsa_system_vgpr_workitem_id 0
		.amdhsa_next_free_vgpr 16
		.amdhsa_next_free_sgpr 34
		.amdhsa_accum_offset 16
		.amdhsa_reserve_vcc 1
		.amdhsa_reserve_flat_scratch 0
		.amdhsa_float_round_mode_32 0
		.amdhsa_float_round_mode_16_64 0
		.amdhsa_float_denorm_mode_32 3
		.amdhsa_float_denorm_mode_16_64 3
		.amdhsa_dx10_clamp 1
		.amdhsa_ieee_mode 1
		.amdhsa_fp16_overflow 0
		.amdhsa_tg_split 0
		.amdhsa_exception_fp_ieee_invalid_op 0
		.amdhsa_exception_fp_denorm_src 0
		.amdhsa_exception_fp_ieee_div_zero 0
		.amdhsa_exception_fp_ieee_overflow 0
		.amdhsa_exception_fp_ieee_underflow 0
		.amdhsa_exception_fp_ieee_inexact 0
		.amdhsa_exception_int_div_zero 0
	.end_amdhsa_kernel
	.section	.text._ZL10tri_kernelI14__hip_bfloat16Lb1ELi1EEvPKT_PS1_llllllllllll,"axG",@progbits,_ZL10tri_kernelI14__hip_bfloat16Lb1ELi1EEvPKT_PS1_llllllllllll,comdat
.Lfunc_end9:
	.size	_ZL10tri_kernelI14__hip_bfloat16Lb1ELi1EEvPKT_PS1_llllllllllll, .Lfunc_end9-_ZL10tri_kernelI14__hip_bfloat16Lb1ELi1EEvPKT_PS1_llllllllllll
                                        ; -- End function
	.section	.AMDGPU.csdata,"",@progbits
; Kernel info:
; codeLenInByte = 1636
; NumSgprs: 38
; NumVgprs: 16
; NumAgprs: 0
; TotalNumVgprs: 16
; ScratchSize: 0
; MemoryBound: 0
; FloatMode: 240
; IeeeMode: 1
; LDSByteSize: 0 bytes/workgroup (compile time only)
; SGPRBlocks: 4
; VGPRBlocks: 1
; NumSGPRsForWavesPerEU: 38
; NumVGPRsForWavesPerEU: 16
; AccumOffset: 16
; Occupancy: 8
; WaveLimiterHint : 0
; COMPUTE_PGM_RSRC2:SCRATCH_EN: 0
; COMPUTE_PGM_RSRC2:USER_SGPR: 6
; COMPUTE_PGM_RSRC2:TRAP_HANDLER: 0
; COMPUTE_PGM_RSRC2:TGID_X_EN: 1
; COMPUTE_PGM_RSRC2:TGID_Y_EN: 1
; COMPUTE_PGM_RSRC2:TGID_Z_EN: 1
; COMPUTE_PGM_RSRC2:TIDIG_COMP_CNT: 0
; COMPUTE_PGM_RSRC3_GFX90A:ACCUM_OFFSET: 3
; COMPUTE_PGM_RSRC3_GFX90A:TG_SPLIT: 0
	.section	.text._ZL10tri_kernelI14__hip_bfloat16Lb0ELi0EEvPKT_PS1_llllllllllll,"axG",@progbits,_ZL10tri_kernelI14__hip_bfloat16Lb0ELi0EEvPKT_PS1_llllllllllll,comdat
	.globl	_ZL10tri_kernelI14__hip_bfloat16Lb0ELi0EEvPKT_PS1_llllllllllll ; -- Begin function _ZL10tri_kernelI14__hip_bfloat16Lb0ELi0EEvPKT_PS1_llllllllllll
	.p2align	8
	.type	_ZL10tri_kernelI14__hip_bfloat16Lb0ELi0EEvPKT_PS1_llllllllllll,@function
_ZL10tri_kernelI14__hip_bfloat16Lb0ELi0EEvPKT_PS1_llllllllllll: ; @_ZL10tri_kernelI14__hip_bfloat16Lb0ELi0EEvPKT_PS1_llllllllllll
; %bb.0:
	s_load_dwordx8 s[12:19], s[4:5], 0x0
	s_load_dwordx4 s[0:3], s[4:5], 0x20
	s_mov_b32 s9, 0
	s_mov_b32 s10, s7
	;; [unrolled: 1-line block ×3, first 2 shown]
	s_waitcnt lgkmcnt(0)
	v_mov_b32_e32 v2, s18
	v_mov_b32_e32 v4, s0
	;; [unrolled: 1-line block ×6, first 2 shown]
	s_mov_b32 s7, s9
	v_cmp_ge_i64_e32 vcc, s[8:9], v[6:7]
	v_cmp_ge_i64_e64 s[0:1], s[10:11], v[4:5]
	s_or_b64 s[0:1], s[0:1], vcc
	v_cmp_ge_i64_e32 vcc, s[6:7], v[2:3]
	s_or_b64 s[0:1], vcc, s[0:1]
	s_and_b64 vcc, exec, s[0:1]
	s_cbranch_vccnz .LBB10_16
; %bb.1:
	s_load_dwordx4 s[20:23], s[4:5], 0x58
	s_load_dwordx2 s[0:1], s[4:5], 0x68
	v_mov_b32_e32 v1, 0
	v_pk_mov_b32 v[2:3], v[0:1], v[0:1] op_sel:[0,1]
	v_cmp_gt_u32_e32 vcc, s6, v0
	s_waitcnt lgkmcnt(0)
	s_mul_i32 s2, s10, s23
	s_mul_hi_u32 s3, s10, s22
	s_mul_i32 s1, s8, s1
	s_add_i32 s19, s3, s2
	s_mul_hi_u32 s2, s8, s0
	s_mul_i32 s18, s10, s22
	s_add_i32 s23, s2, s1
	s_mul_i32 s22, s8, s0
	s_and_saveexec_b64 s[2:3], vcc
	s_cbranch_execz .LBB10_13
; %bb.2:
	s_load_dword s0, s[4:5], 0x7c
	v_mov_b32_e32 v4, s7
	s_mov_b32 s11, 0
	s_waitcnt lgkmcnt(0)
	s_and_b32 s9, s0, 0xffff
	v_add_co_u32_e32 v6, vcc, s9, v0
	v_addc_co_u32_e64 v7, s[0:1], 0, 0, vcc
	v_cmp_lt_u64_e32 vcc, s[6:7], v[6:7]
	v_cndmask_b32_e32 v8, v4, v7, vcc
	v_mov_b32_e32 v4, s6
	v_cndmask_b32_e32 v5, v4, v6, vcc
	v_cmp_gt_u64_e32 vcc, s[6:7], v[6:7]
	v_cndmask_b32_e64 v4, 0, 1, vcc
	v_add_co_u32_e32 v6, vcc, v6, v4
	v_addc_co_u32_e32 v7, vcc, 0, v7, vcc
	v_sub_co_u32_e32 v5, vcc, v5, v6
	v_subb_co_u32_e32 v7, vcc, v8, v7, vcc
	v_mov_b32_e32 v6, v1
	v_cmp_ne_u64_e32 vcc, 0, v[6:7]
                                        ; implicit-def: $vgpr8_vgpr9
	s_and_saveexec_b64 s[0:1], vcc
	s_xor_b64 s[24:25], exec, s[0:1]
	s_cbranch_execz .LBB10_4
; %bb.3:
	v_cvt_f32_u32_e32 v6, s9
	v_mov_b32_e32 v8, 0x4f800000
	s_sub_u32 s0, 0, s9
	s_subb_u32 s1, 0, 0
	v_mac_f32_e32 v6, 0, v8
	v_rcp_f32_e32 v6, v6
	v_mul_f32_e32 v6, 0x5f7ffffc, v6
	v_mul_f32_e32 v8, 0x2f800000, v6
	v_trunc_f32_e32 v8, v8
	v_madmk_f32 v6, v8, 0xcf800000, v6
	v_cvt_u32_f32_e32 v8, v8
	v_cvt_u32_f32_e32 v6, v6
	v_mul_lo_u32 v9, s0, v8
	v_mul_hi_u32 v11, s0, v6
	v_mul_lo_u32 v10, s1, v6
	v_add_u32_e32 v9, v11, v9
	v_mul_lo_u32 v12, s0, v6
	v_add_u32_e32 v9, v9, v10
	v_mul_hi_u32 v11, v6, v12
	v_mul_lo_u32 v13, v6, v9
	v_mul_hi_u32 v10, v6, v9
	v_add_co_u32_e32 v11, vcc, v11, v13
	v_addc_co_u32_e32 v10, vcc, 0, v10, vcc
	v_mul_hi_u32 v14, v8, v12
	v_mul_lo_u32 v12, v8, v12
	v_add_co_u32_e32 v11, vcc, v11, v12
	v_mul_hi_u32 v13, v8, v9
	v_addc_co_u32_e32 v10, vcc, v10, v14, vcc
	v_addc_co_u32_e32 v11, vcc, 0, v13, vcc
	v_mul_lo_u32 v9, v8, v9
	v_add_co_u32_e32 v9, vcc, v10, v9
	v_addc_co_u32_e32 v10, vcc, 0, v11, vcc
	v_add_co_u32_e32 v6, vcc, v6, v9
	v_addc_co_u32_e32 v8, vcc, v8, v10, vcc
	v_mul_lo_u32 v9, s0, v8
	v_mul_hi_u32 v10, s0, v6
	v_add_u32_e32 v9, v10, v9
	v_mul_lo_u32 v10, s1, v6
	v_add_u32_e32 v9, v9, v10
	v_mul_lo_u32 v11, s0, v6
	v_mul_hi_u32 v12, v8, v11
	v_mul_lo_u32 v13, v8, v11
	v_mul_lo_u32 v15, v6, v9
	v_mul_hi_u32 v11, v6, v11
	v_mul_hi_u32 v14, v6, v9
	v_add_co_u32_e32 v11, vcc, v11, v15
	v_addc_co_u32_e32 v14, vcc, 0, v14, vcc
	v_add_co_u32_e32 v11, vcc, v11, v13
	v_mul_hi_u32 v10, v8, v9
	v_addc_co_u32_e32 v11, vcc, v14, v12, vcc
	v_addc_co_u32_e32 v10, vcc, 0, v10, vcc
	v_mul_lo_u32 v9, v8, v9
	v_add_co_u32_e32 v9, vcc, v11, v9
	v_addc_co_u32_e32 v10, vcc, 0, v10, vcc
	v_add_co_u32_e32 v6, vcc, v6, v9
	v_addc_co_u32_e32 v10, vcc, v8, v10, vcc
	v_mad_u64_u32 v[8:9], s[0:1], v5, v10, 0
	v_mul_hi_u32 v11, v5, v6
	v_add_co_u32_e32 v12, vcc, v11, v8
	v_addc_co_u32_e32 v13, vcc, 0, v9, vcc
	v_mad_u64_u32 v[8:9], s[0:1], v7, v10, 0
	v_mad_u64_u32 v[10:11], s[0:1], v7, v6, 0
	v_add_co_u32_e32 v6, vcc, v12, v10
	v_addc_co_u32_e32 v6, vcc, v13, v11, vcc
	v_addc_co_u32_e32 v9, vcc, 0, v9, vcc
	v_add_co_u32_e32 v12, vcc, v6, v8
	v_addc_co_u32_e32 v13, vcc, 0, v9, vcc
	v_mad_u64_u32 v[8:9], s[0:1], s9, v12, 0
	v_mov_b32_e32 v6, v9
	v_mad_u64_u32 v[10:11], s[0:1], s9, v13, v[6:7]
	v_sub_co_u32_e32 v5, vcc, v5, v8
	v_subb_co_u32_e32 v6, vcc, v7, v10, vcc
	v_subrev_co_u32_e32 v7, vcc, s9, v5
	v_subbrev_co_u32_e32 v8, vcc, 0, v6, vcc
	v_cmp_le_u32_e32 vcc, s9, v7
	v_cndmask_b32_e64 v7, 0, -1, vcc
	v_cmp_eq_u32_e32 vcc, 0, v8
	v_cndmask_b32_e32 v7, -1, v7, vcc
	v_add_co_u32_e32 v8, vcc, 2, v12
	v_addc_co_u32_e32 v9, vcc, 0, v13, vcc
	v_add_co_u32_e32 v10, vcc, 1, v12
	v_cmp_le_u32_e64 s[0:1], s9, v5
	v_addc_co_u32_e32 v11, vcc, 0, v13, vcc
	v_cndmask_b32_e64 v5, 0, -1, s[0:1]
	v_cmp_eq_u32_e64 s[0:1], 0, v6
	v_cmp_ne_u32_e32 vcc, 0, v7
	v_cndmask_b32_e64 v5, -1, v5, s[0:1]
	v_cndmask_b32_e32 v7, v11, v9, vcc
	v_cmp_ne_u32_e64 s[0:1], 0, v5
	v_cndmask_b32_e32 v5, v10, v8, vcc
	v_cndmask_b32_e64 v9, v13, v7, s[0:1]
	v_cndmask_b32_e64 v8, v12, v5, s[0:1]
                                        ; implicit-def: $vgpr5
.LBB10_4:
	s_andn2_saveexec_b64 s[0:1], s[24:25]
	s_cbranch_execz .LBB10_6
; %bb.5:
	v_cvt_f32_u32_e32 v6, s9
	s_sub_i32 s24, 0, s9
	v_mov_b32_e32 v9, 0
	v_rcp_iflag_f32_e32 v6, v6
	v_mul_f32_e32 v6, 0x4f7ffffe, v6
	v_cvt_u32_f32_e32 v6, v6
	v_mul_lo_u32 v7, s24, v6
	v_mul_hi_u32 v7, v6, v7
	v_add_u32_e32 v6, v6, v7
	v_mul_hi_u32 v6, v5, v6
	v_mul_lo_u32 v7, v6, s9
	v_sub_u32_e32 v5, v5, v7
	v_add_u32_e32 v8, 1, v6
	v_subrev_u32_e32 v7, s9, v5
	v_cmp_le_u32_e32 vcc, s9, v5
	v_cndmask_b32_e32 v5, v5, v7, vcc
	v_cndmask_b32_e32 v6, v6, v8, vcc
	v_add_u32_e32 v7, 1, v6
	v_cmp_le_u32_e32 vcc, s9, v5
	v_cndmask_b32_e32 v8, v6, v7, vcc
.LBB10_6:
	s_or_b64 exec, exec, s[0:1]
	v_add_co_u32_e32 v4, vcc, v8, v4
	v_addc_co_u32_e32 v5, vcc, 0, v9, vcc
	v_add_co_u32_e32 v6, vcc, 1, v4
	s_mul_i32 s0, s6, s21
	s_mul_hi_u32 s1, s6, s20
	v_addc_co_u32_e32 v7, vcc, 0, v5, vcc
	s_add_i32 s25, s1, s0
	v_cmp_lt_u64_e32 vcc, 31, v[6:7]
	v_cmp_eq_u16_e64 s[0:1], s9, 1
	s_mul_i32 s24, s6, s20
	s_and_b64 s[28:29], vcc, s[0:1]
	s_mov_b64 s[0:1], -1
	s_and_saveexec_b64 s[26:27], s[28:29]
	s_cbranch_execz .LBB10_10
; %bb.7:
	s_lshl_b64 s[0:1], s[24:25], 1
	s_add_u32 s28, s14, s0
	s_addc_u32 s29, s15, s1
	s_lshl_b64 s[0:1], s[18:19], 1
	s_add_u32 s28, s28, s0
	s_addc_u32 s29, s29, s1
	;; [unrolled: 3-line block ×3, first 2 shown]
	v_lshlrev_b32_e32 v2, 1, v0
	s_mov_b32 s31, 0
	v_mov_b32_e32 v3, s1
	v_add_co_u32_e32 v10, vcc, s0, v2
	s_mov_b32 s36, s31
	s_mov_b32 s37, s31
	v_and_b32_e32 v8, 0xffffffe0, v6
	v_mov_b32_e32 v9, v7
	v_addc_co_u32_e32 v11, vcc, 0, v3, vcc
	s_mov_b32 s38, s31
	s_mov_b32 s39, s31
	v_pk_mov_b32 v[2:3], s[36:37], s[36:37] op_sel:[0,1]
	s_lshl_b32 s30, s9, 6
	s_mov_b64 s[28:29], 0
	v_pk_mov_b32 v[4:5], s[38:39], s[38:39] op_sel:[0,1]
	v_mov_b32_e32 v14, s31
	v_pk_mov_b32 v[12:13], v[8:9], v[8:9] op_sel:[0,1]
.LBB10_8:                               ; =>This Inner Loop Header: Depth=1
	v_add_co_u32_e32 v12, vcc, 0xffffffe0, v12
	v_addc_co_u32_e32 v13, vcc, -1, v13, vcc
	global_store_dwordx4 v[10:11], v[2:5], off
	global_store_dwordx4 v[10:11], v[2:5], off offset:16
	global_store_dwordx4 v[10:11], v[2:5], off offset:32
	;; [unrolled: 1-line block ×3, first 2 shown]
	v_add_co_u32_e64 v10, s[0:1], s30, v10
	v_cmp_eq_u64_e32 vcc, 0, v[12:13]
	s_or_b64 s[28:29], vcc, s[28:29]
	v_addc_co_u32_e64 v11, vcc, v11, v14, s[0:1]
	s_andn2_b64 exec, exec, s[28:29]
	s_cbranch_execnz .LBB10_8
; %bb.9:
	s_or_b64 exec, exec, s[28:29]
	v_mad_u64_u32 v[2:3], s[0:1], v8, s9, v[0:1]
	v_mov_b32_e32 v4, v3
                                        ; kill: def $vgpr1 killed $sgpr0 killed $exec
	v_mad_u64_u32 v[4:5], s[0:1], v9, s9, v[4:5]
	v_cmp_ne_u64_e32 vcc, v[6:7], v[8:9]
	v_mov_b32_e32 v3, v4
	s_orn2_b64 s[0:1], vcc, exec
.LBB10_10:
	s_or_b64 exec, exec, s[26:27]
	s_and_b64 exec, exec, s[0:1]
	s_cbranch_execz .LBB10_13
; %bb.11:
	s_lshl_b64 s[0:1], s[22:23], 1
	s_lshl_b64 s[26:27], s[18:19], 1
	s_add_u32 s26, s0, s26
	s_addc_u32 s27, s1, s27
	s_lshl_b64 s[0:1], s[24:25], 1
	s_add_u32 s0, s26, s0
	s_addc_u32 s1, s27, s1
	s_add_u32 s0, s14, s0
	v_lshlrev_b64 v[4:5], 1, v[2:3]
	s_addc_u32 s1, s15, s1
	v_mov_b32_e32 v1, s1
	v_add_co_u32_e32 v4, vcc, s0, v4
	s_mov_b32 s0, 0
	v_addc_co_u32_e32 v5, vcc, v1, v5, vcc
	s_lshl_b32 s26, s9, 1
	s_mov_b64 s[24:25], 0
	v_mov_b32_e32 v1, 0
	v_mov_b32_e32 v6, s11
	;; [unrolled: 1-line block ×3, first 2 shown]
.LBB10_12:                              ; =>This Inner Loop Header: Depth=1
	v_add_co_u32_e32 v2, vcc, s9, v2
	v_addc_co_u32_e32 v3, vcc, v3, v6, vcc
	global_store_short v[4:5], v1, off
	v_add_co_u32_e32 v4, vcc, s26, v4
	v_cmp_le_u64_e64 s[0:1], s[6:7], v[2:3]
	s_or_b64 s[24:25], s[0:1], s[24:25]
	v_addc_co_u32_e32 v5, vcc, v5, v7, vcc
	s_andn2_b64 exec, exec, s[24:25]
	s_cbranch_execnz .LBB10_12
.LBB10_13:
	s_or_b64 exec, exec, s[2:3]
	v_mov_b32_e32 v1, s7
	v_add_co_u32_e32 v2, vcc, s6, v0
	v_addc_co_u32_e32 v3, vcc, 0, v1, vcc
	v_cmp_gt_i64_e32 vcc, s[16:17], v[2:3]
	s_and_saveexec_b64 s[0:1], vcc
	s_cbranch_execz .LBB10_16
; %bb.14:
	s_load_dword s7, s[4:5], 0x7c
	s_load_dwordx4 s[0:3], s[4:5], 0x38
	s_load_dwordx2 s[24:25], s[4:5], 0x48
	s_lshl_b64 s[22:23], s[22:23], 1
	s_lshl_b64 s[18:19], s[18:19], 1
	s_waitcnt lgkmcnt(0)
	s_and_b32 s4, s7, 0xffff
	s_add_u32 s5, s22, s18
	s_addc_u32 s7, s23, s19
	s_lshl_b64 s[18:19], s[20:21], 1
	s_add_u32 s9, s18, 2
	s_addc_u32 s18, s19, 0
	s_mul_i32 s18, s18, s6
	s_mul_hi_u32 s19, s9, s6
	s_add_i32 s19, s19, s18
	s_mul_i32 s9, s9, s6
	s_add_u32 s5, s5, s9
	s_addc_u32 s7, s7, s19
	s_add_u32 s5, s14, s5
	s_addc_u32 s7, s15, s7
	v_mov_b32_e32 v1, s7
	s_mul_i32 s7, s25, s8
	s_mul_hi_u32 s9, s24, s8
	s_add_i32 s9, s9, s7
	s_mul_i32 s3, s3, s10
	s_mul_hi_u32 s7, s2, s10
	v_lshlrev_b32_e32 v4, 1, v0
	s_mul_i32 s8, s24, s8
	s_add_i32 s3, s7, s3
	s_mul_i32 s2, s2, s10
	v_add_co_u32_e32 v0, vcc, s5, v4
	s_lshl_b32 s5, s4, 1
	s_lshl_b64 s[8:9], s[8:9], 1
	s_lshl_b64 s[2:3], s[2:3], 1
	s_add_u32 s2, s8, s2
	s_addc_u32 s3, s9, s3
	s_lshl_b64 s[0:1], s[0:1], 1
	s_add_u32 s0, s0, 2
	s_addc_u32 s1, s1, 0
	s_mul_i32 s1, s1, s6
	s_mul_hi_u32 s7, s0, s6
	s_add_i32 s7, s7, s1
	s_mul_i32 s0, s0, s6
	s_add_u32 s0, s2, s0
	s_addc_u32 s1, s3, s7
	s_add_u32 s0, s12, s0
	v_addc_co_u32_e32 v1, vcc, 0, v1, vcc
	s_addc_u32 s1, s13, s1
	s_mov_b32 s11, 0
	v_mov_b32_e32 v5, s1
	v_add_co_u32_e32 v4, vcc, s0, v4
	v_addc_co_u32_e32 v5, vcc, 0, v5, vcc
	s_mov_b64 s[0:1], 0
	v_mov_b32_e32 v6, s11
	s_mov_b64 s[2:3], 0
.LBB10_15:                              ; =>This Inner Loop Header: Depth=1
	v_mov_b32_e32 v7, s3
	v_add_co_u32_e32 v8, vcc, s2, v4
	v_addc_co_u32_e32 v9, vcc, v5, v7, vcc
	global_load_ushort v10, v[8:9], off
	v_add_co_u32_e32 v2, vcc, s4, v2
	v_addc_co_u32_e32 v3, vcc, v3, v6, vcc
	v_add_co_u32_e32 v8, vcc, s2, v0
	s_add_u32 s2, s2, s5
	v_addc_co_u32_e32 v9, vcc, v1, v7, vcc
	s_addc_u32 s3, s3, 0
	v_cmp_le_i64_e32 vcc, s[16:17], v[2:3]
	s_or_b64 s[0:1], vcc, s[0:1]
	s_waitcnt vmcnt(0)
	global_store_short v[8:9], v10, off
	s_andn2_b64 exec, exec, s[0:1]
	s_cbranch_execnz .LBB10_15
.LBB10_16:
	s_endpgm
	.section	.rodata,"a",@progbits
	.p2align	6, 0x0
	.amdhsa_kernel _ZL10tri_kernelI14__hip_bfloat16Lb0ELi0EEvPKT_PS1_llllllllllll
		.amdhsa_group_segment_fixed_size 0
		.amdhsa_private_segment_fixed_size 0
		.amdhsa_kernarg_size 368
		.amdhsa_user_sgpr_count 6
		.amdhsa_user_sgpr_private_segment_buffer 1
		.amdhsa_user_sgpr_dispatch_ptr 0
		.amdhsa_user_sgpr_queue_ptr 0
		.amdhsa_user_sgpr_kernarg_segment_ptr 1
		.amdhsa_user_sgpr_dispatch_id 0
		.amdhsa_user_sgpr_flat_scratch_init 0
		.amdhsa_user_sgpr_kernarg_preload_length 0
		.amdhsa_user_sgpr_kernarg_preload_offset 0
		.amdhsa_user_sgpr_private_segment_size 0
		.amdhsa_uses_dynamic_stack 0
		.amdhsa_system_sgpr_private_segment_wavefront_offset 0
		.amdhsa_system_sgpr_workgroup_id_x 1
		.amdhsa_system_sgpr_workgroup_id_y 1
		.amdhsa_system_sgpr_workgroup_id_z 1
		.amdhsa_system_sgpr_workgroup_info 0
		.amdhsa_system_vgpr_workitem_id 0
		.amdhsa_next_free_vgpr 16
		.amdhsa_next_free_sgpr 40
		.amdhsa_accum_offset 16
		.amdhsa_reserve_vcc 1
		.amdhsa_reserve_flat_scratch 0
		.amdhsa_float_round_mode_32 0
		.amdhsa_float_round_mode_16_64 0
		.amdhsa_float_denorm_mode_32 3
		.amdhsa_float_denorm_mode_16_64 3
		.amdhsa_dx10_clamp 1
		.amdhsa_ieee_mode 1
		.amdhsa_fp16_overflow 0
		.amdhsa_tg_split 0
		.amdhsa_exception_fp_ieee_invalid_op 0
		.amdhsa_exception_fp_denorm_src 0
		.amdhsa_exception_fp_ieee_div_zero 0
		.amdhsa_exception_fp_ieee_overflow 0
		.amdhsa_exception_fp_ieee_underflow 0
		.amdhsa_exception_fp_ieee_inexact 0
		.amdhsa_exception_int_div_zero 0
	.end_amdhsa_kernel
	.section	.text._ZL10tri_kernelI14__hip_bfloat16Lb0ELi0EEvPKT_PS1_llllllllllll,"axG",@progbits,_ZL10tri_kernelI14__hip_bfloat16Lb0ELi0EEvPKT_PS1_llllllllllll,comdat
.Lfunc_end10:
	.size	_ZL10tri_kernelI14__hip_bfloat16Lb0ELi0EEvPKT_PS1_llllllllllll, .Lfunc_end10-_ZL10tri_kernelI14__hip_bfloat16Lb0ELi0EEvPKT_PS1_llllllllllll
                                        ; -- End function
	.section	.AMDGPU.csdata,"",@progbits
; Kernel info:
; codeLenInByte = 1684
; NumSgprs: 44
; NumVgprs: 16
; NumAgprs: 0
; TotalNumVgprs: 16
; ScratchSize: 0
; MemoryBound: 0
; FloatMode: 240
; IeeeMode: 1
; LDSByteSize: 0 bytes/workgroup (compile time only)
; SGPRBlocks: 5
; VGPRBlocks: 1
; NumSGPRsForWavesPerEU: 44
; NumVGPRsForWavesPerEU: 16
; AccumOffset: 16
; Occupancy: 8
; WaveLimiterHint : 0
; COMPUTE_PGM_RSRC2:SCRATCH_EN: 0
; COMPUTE_PGM_RSRC2:USER_SGPR: 6
; COMPUTE_PGM_RSRC2:TRAP_HANDLER: 0
; COMPUTE_PGM_RSRC2:TGID_X_EN: 1
; COMPUTE_PGM_RSRC2:TGID_Y_EN: 1
; COMPUTE_PGM_RSRC2:TGID_Z_EN: 1
; COMPUTE_PGM_RSRC2:TIDIG_COMP_CNT: 0
; COMPUTE_PGM_RSRC3_GFX90A:ACCUM_OFFSET: 3
; COMPUTE_PGM_RSRC3_GFX90A:TG_SPLIT: 0
	.section	.text._ZL10tri_kernelI14__hip_bfloat16Lb0ELi1EEvPKT_PS1_llllllllllll,"axG",@progbits,_ZL10tri_kernelI14__hip_bfloat16Lb0ELi1EEvPKT_PS1_llllllllllll,comdat
	.globl	_ZL10tri_kernelI14__hip_bfloat16Lb0ELi1EEvPKT_PS1_llllllllllll ; -- Begin function _ZL10tri_kernelI14__hip_bfloat16Lb0ELi1EEvPKT_PS1_llllllllllll
	.p2align	8
	.type	_ZL10tri_kernelI14__hip_bfloat16Lb0ELi1EEvPKT_PS1_llllllllllll,@function
_ZL10tri_kernelI14__hip_bfloat16Lb0ELi1EEvPKT_PS1_llllllllllll: ; @_ZL10tri_kernelI14__hip_bfloat16Lb0ELi1EEvPKT_PS1_llllllllllll
; %bb.0:
	s_load_dwordx8 s[12:19], s[4:5], 0x0
	s_load_dwordx4 s[0:3], s[4:5], 0x20
	s_mov_b32 s9, 0
	s_mov_b32 s10, s7
	;; [unrolled: 1-line block ×3, first 2 shown]
	s_waitcnt lgkmcnt(0)
	v_mov_b32_e32 v2, s18
	v_mov_b32_e32 v4, s0
	;; [unrolled: 1-line block ×6, first 2 shown]
	s_mov_b32 s7, s9
	v_cmp_ge_i64_e32 vcc, s[8:9], v[6:7]
	v_cmp_ge_i64_e64 s[0:1], s[10:11], v[4:5]
	s_or_b64 s[0:1], s[0:1], vcc
	v_cmp_ge_i64_e32 vcc, s[6:7], v[2:3]
	s_or_b64 s[0:1], vcc, s[0:1]
	s_and_b64 vcc, exec, s[0:1]
	s_cbranch_vccnz .LBB11_16
; %bb.1:
	s_load_dwordx4 s[20:23], s[4:5], 0x58
	s_load_dwordx2 s[0:1], s[4:5], 0x68
	s_add_u32 s2, s6, 1
	s_addc_u32 s3, 0, 0
	v_mov_b32_e32 v1, 0
	s_waitcnt lgkmcnt(0)
	s_mul_i32 s9, s10, s23
	s_mul_hi_u32 s11, s10, s22
	s_add_i32 s19, s11, s9
	s_mul_i32 s1, s8, s1
	s_mul_hi_u32 s9, s8, s0
	s_mul_i32 s18, s10, s22
	s_add_i32 s23, s9, s1
	s_mul_i32 s22, s8, s0
	v_pk_mov_b32 v[2:3], v[0:1], v[0:1] op_sel:[0,1]
	v_cmp_ge_u32_e32 vcc, s6, v0
	s_and_saveexec_b64 s[24:25], vcc
	s_cbranch_execz .LBB11_13
; %bb.2:
	s_load_dword s0, s[4:5], 0x7c
	v_mov_b32_e32 v4, s3
	s_mov_b32 s11, 0
	s_waitcnt lgkmcnt(0)
	s_and_b32 s9, s0, 0xffff
	v_add_co_u32_e32 v6, vcc, s9, v0
	v_addc_co_u32_e64 v7, s[0:1], 0, 0, vcc
	v_cmp_lt_u64_e32 vcc, s[2:3], v[6:7]
	v_cndmask_b32_e32 v8, v4, v7, vcc
	v_mov_b32_e32 v4, s2
	v_cndmask_b32_e32 v5, v4, v6, vcc
	v_cmp_ge_u64_e32 vcc, s[6:7], v[6:7]
	v_cndmask_b32_e64 v4, 0, 1, vcc
	v_add_co_u32_e32 v6, vcc, v6, v4
	v_addc_co_u32_e32 v7, vcc, 0, v7, vcc
	v_sub_co_u32_e32 v5, vcc, v5, v6
	v_subb_co_u32_e32 v7, vcc, v8, v7, vcc
	v_mov_b32_e32 v6, v1
	v_cmp_ne_u64_e32 vcc, 0, v[6:7]
                                        ; implicit-def: $vgpr8_vgpr9
	s_and_saveexec_b64 s[0:1], vcc
	s_xor_b64 s[26:27], exec, s[0:1]
	s_cbranch_execz .LBB11_4
; %bb.3:
	v_cvt_f32_u32_e32 v6, s9
	v_mov_b32_e32 v8, 0x4f800000
	s_sub_u32 s0, 0, s9
	s_subb_u32 s1, 0, 0
	v_mac_f32_e32 v6, 0, v8
	v_rcp_f32_e32 v6, v6
	v_mul_f32_e32 v6, 0x5f7ffffc, v6
	v_mul_f32_e32 v8, 0x2f800000, v6
	v_trunc_f32_e32 v8, v8
	v_madmk_f32 v6, v8, 0xcf800000, v6
	v_cvt_u32_f32_e32 v8, v8
	v_cvt_u32_f32_e32 v6, v6
	v_mul_lo_u32 v9, s0, v8
	v_mul_hi_u32 v11, s0, v6
	v_mul_lo_u32 v10, s1, v6
	v_add_u32_e32 v9, v11, v9
	v_mul_lo_u32 v12, s0, v6
	v_add_u32_e32 v9, v9, v10
	v_mul_hi_u32 v11, v6, v12
	v_mul_lo_u32 v13, v6, v9
	v_mul_hi_u32 v10, v6, v9
	v_add_co_u32_e32 v11, vcc, v11, v13
	v_addc_co_u32_e32 v10, vcc, 0, v10, vcc
	v_mul_hi_u32 v14, v8, v12
	v_mul_lo_u32 v12, v8, v12
	v_add_co_u32_e32 v11, vcc, v11, v12
	v_mul_hi_u32 v13, v8, v9
	v_addc_co_u32_e32 v10, vcc, v10, v14, vcc
	v_addc_co_u32_e32 v11, vcc, 0, v13, vcc
	v_mul_lo_u32 v9, v8, v9
	v_add_co_u32_e32 v9, vcc, v10, v9
	v_addc_co_u32_e32 v10, vcc, 0, v11, vcc
	v_add_co_u32_e32 v6, vcc, v6, v9
	v_addc_co_u32_e32 v8, vcc, v8, v10, vcc
	v_mul_lo_u32 v9, s0, v8
	v_mul_hi_u32 v10, s0, v6
	v_add_u32_e32 v9, v10, v9
	v_mul_lo_u32 v10, s1, v6
	v_add_u32_e32 v9, v9, v10
	v_mul_lo_u32 v11, s0, v6
	v_mul_hi_u32 v12, v8, v11
	v_mul_lo_u32 v13, v8, v11
	v_mul_lo_u32 v15, v6, v9
	v_mul_hi_u32 v11, v6, v11
	v_mul_hi_u32 v14, v6, v9
	v_add_co_u32_e32 v11, vcc, v11, v15
	v_addc_co_u32_e32 v14, vcc, 0, v14, vcc
	v_add_co_u32_e32 v11, vcc, v11, v13
	v_mul_hi_u32 v10, v8, v9
	v_addc_co_u32_e32 v11, vcc, v14, v12, vcc
	v_addc_co_u32_e32 v10, vcc, 0, v10, vcc
	v_mul_lo_u32 v9, v8, v9
	v_add_co_u32_e32 v9, vcc, v11, v9
	v_addc_co_u32_e32 v10, vcc, 0, v10, vcc
	v_add_co_u32_e32 v6, vcc, v6, v9
	v_addc_co_u32_e32 v10, vcc, v8, v10, vcc
	v_mad_u64_u32 v[8:9], s[0:1], v5, v10, 0
	v_mul_hi_u32 v11, v5, v6
	v_add_co_u32_e32 v12, vcc, v11, v8
	v_addc_co_u32_e32 v13, vcc, 0, v9, vcc
	v_mad_u64_u32 v[8:9], s[0:1], v7, v10, 0
	v_mad_u64_u32 v[10:11], s[0:1], v7, v6, 0
	v_add_co_u32_e32 v6, vcc, v12, v10
	v_addc_co_u32_e32 v6, vcc, v13, v11, vcc
	v_addc_co_u32_e32 v9, vcc, 0, v9, vcc
	v_add_co_u32_e32 v12, vcc, v6, v8
	v_addc_co_u32_e32 v13, vcc, 0, v9, vcc
	v_mad_u64_u32 v[8:9], s[0:1], s9, v12, 0
	v_mov_b32_e32 v6, v9
	v_mad_u64_u32 v[10:11], s[0:1], s9, v13, v[6:7]
	v_sub_co_u32_e32 v5, vcc, v5, v8
	v_subb_co_u32_e32 v6, vcc, v7, v10, vcc
	v_subrev_co_u32_e32 v7, vcc, s9, v5
	v_subbrev_co_u32_e32 v8, vcc, 0, v6, vcc
	v_cmp_le_u32_e32 vcc, s9, v7
	v_cndmask_b32_e64 v7, 0, -1, vcc
	v_cmp_eq_u32_e32 vcc, 0, v8
	v_cndmask_b32_e32 v7, -1, v7, vcc
	v_add_co_u32_e32 v8, vcc, 2, v12
	v_addc_co_u32_e32 v9, vcc, 0, v13, vcc
	v_add_co_u32_e32 v10, vcc, 1, v12
	v_cmp_le_u32_e64 s[0:1], s9, v5
	v_addc_co_u32_e32 v11, vcc, 0, v13, vcc
	v_cndmask_b32_e64 v5, 0, -1, s[0:1]
	v_cmp_eq_u32_e64 s[0:1], 0, v6
	v_cmp_ne_u32_e32 vcc, 0, v7
	v_cndmask_b32_e64 v5, -1, v5, s[0:1]
	v_cndmask_b32_e32 v7, v11, v9, vcc
	v_cmp_ne_u32_e64 s[0:1], 0, v5
	v_cndmask_b32_e32 v5, v10, v8, vcc
	v_cndmask_b32_e64 v9, v13, v7, s[0:1]
	v_cndmask_b32_e64 v8, v12, v5, s[0:1]
                                        ; implicit-def: $vgpr5
.LBB11_4:
	s_andn2_saveexec_b64 s[0:1], s[26:27]
	s_cbranch_execz .LBB11_6
; %bb.5:
	v_cvt_f32_u32_e32 v6, s9
	s_sub_i32 s26, 0, s9
	v_mov_b32_e32 v9, 0
	v_rcp_iflag_f32_e32 v6, v6
	v_mul_f32_e32 v6, 0x4f7ffffe, v6
	v_cvt_u32_f32_e32 v6, v6
	v_mul_lo_u32 v7, s26, v6
	v_mul_hi_u32 v7, v6, v7
	v_add_u32_e32 v6, v6, v7
	v_mul_hi_u32 v6, v5, v6
	v_mul_lo_u32 v7, v6, s9
	v_sub_u32_e32 v5, v5, v7
	v_add_u32_e32 v8, 1, v6
	v_subrev_u32_e32 v7, s9, v5
	v_cmp_le_u32_e32 vcc, s9, v5
	v_cndmask_b32_e32 v5, v5, v7, vcc
	v_cndmask_b32_e32 v6, v6, v8, vcc
	v_add_u32_e32 v7, 1, v6
	v_cmp_le_u32_e32 vcc, s9, v5
	v_cndmask_b32_e32 v8, v6, v7, vcc
.LBB11_6:
	s_or_b64 exec, exec, s[0:1]
	v_add_co_u32_e32 v4, vcc, v8, v4
	v_addc_co_u32_e32 v5, vcc, 0, v9, vcc
	v_add_co_u32_e32 v6, vcc, 1, v4
	s_mul_i32 s0, s6, s21
	s_mul_hi_u32 s1, s6, s20
	v_addc_co_u32_e32 v7, vcc, 0, v5, vcc
	s_add_i32 s27, s1, s0
	v_cmp_lt_u64_e32 vcc, 31, v[6:7]
	v_cmp_eq_u16_e64 s[0:1], s9, 1
	s_mul_i32 s26, s6, s20
	s_and_b64 s[30:31], vcc, s[0:1]
	s_mov_b64 s[0:1], -1
	s_and_saveexec_b64 s[28:29], s[30:31]
	s_cbranch_execz .LBB11_10
; %bb.7:
	s_lshl_b64 s[0:1], s[26:27], 1
	s_add_u32 s30, s14, s0
	s_addc_u32 s31, s15, s1
	s_lshl_b64 s[0:1], s[18:19], 1
	s_add_u32 s30, s30, s0
	s_addc_u32 s31, s31, s1
	;; [unrolled: 3-line block ×3, first 2 shown]
	v_lshlrev_b32_e32 v2, 1, v0
	s_mov_b32 s34, 0
	v_mov_b32_e32 v3, s1
	v_add_co_u32_e32 v10, vcc, s0, v2
	s_mov_b32 s36, s34
	s_mov_b32 s37, s34
	v_and_b32_e32 v8, 0xffffffe0, v6
	v_mov_b32_e32 v9, v7
	v_addc_co_u32_e32 v11, vcc, 0, v3, vcc
	s_mov_b32 s38, s34
	s_mov_b32 s39, s34
	v_pk_mov_b32 v[2:3], s[36:37], s[36:37] op_sel:[0,1]
	s_lshl_b32 s33, s9, 6
	s_mov_b64 s[30:31], 0
	v_pk_mov_b32 v[4:5], s[38:39], s[38:39] op_sel:[0,1]
	v_mov_b32_e32 v14, s34
	v_pk_mov_b32 v[12:13], v[8:9], v[8:9] op_sel:[0,1]
.LBB11_8:                               ; =>This Inner Loop Header: Depth=1
	v_add_co_u32_e32 v12, vcc, 0xffffffe0, v12
	v_addc_co_u32_e32 v13, vcc, -1, v13, vcc
	global_store_dwordx4 v[10:11], v[2:5], off
	global_store_dwordx4 v[10:11], v[2:5], off offset:16
	global_store_dwordx4 v[10:11], v[2:5], off offset:32
	;; [unrolled: 1-line block ×3, first 2 shown]
	v_add_co_u32_e64 v10, s[0:1], s33, v10
	v_cmp_eq_u64_e32 vcc, 0, v[12:13]
	s_or_b64 s[30:31], vcc, s[30:31]
	v_addc_co_u32_e64 v11, vcc, v11, v14, s[0:1]
	s_andn2_b64 exec, exec, s[30:31]
	s_cbranch_execnz .LBB11_8
; %bb.9:
	s_or_b64 exec, exec, s[30:31]
	v_mad_u64_u32 v[2:3], s[0:1], v8, s9, v[0:1]
	v_mov_b32_e32 v4, v3
                                        ; kill: def $vgpr1 killed $sgpr0 killed $exec
	v_mad_u64_u32 v[4:5], s[0:1], v9, s9, v[4:5]
	v_cmp_ne_u64_e32 vcc, v[6:7], v[8:9]
	v_mov_b32_e32 v3, v4
	s_orn2_b64 s[0:1], vcc, exec
.LBB11_10:
	s_or_b64 exec, exec, s[28:29]
	s_and_b64 exec, exec, s[0:1]
	s_cbranch_execz .LBB11_13
; %bb.11:
	s_lshl_b64 s[0:1], s[22:23], 1
	s_lshl_b64 s[28:29], s[18:19], 1
	s_add_u32 s28, s0, s28
	s_addc_u32 s29, s1, s29
	s_lshl_b64 s[0:1], s[26:27], 1
	s_add_u32 s0, s28, s0
	s_addc_u32 s1, s29, s1
	s_add_u32 s0, s14, s0
	v_lshlrev_b64 v[4:5], 1, v[2:3]
	s_addc_u32 s1, s15, s1
	v_mov_b32_e32 v1, s1
	v_add_co_u32_e32 v4, vcc, s0, v4
	s_mov_b32 s0, 0
	v_addc_co_u32_e32 v5, vcc, v1, v5, vcc
	s_lshl_b32 s28, s9, 1
	s_mov_b64 s[26:27], 0
	v_mov_b32_e32 v1, 0
	v_mov_b32_e32 v6, s11
	;; [unrolled: 1-line block ×3, first 2 shown]
.LBB11_12:                              ; =>This Inner Loop Header: Depth=1
	v_add_co_u32_e32 v2, vcc, s9, v2
	v_addc_co_u32_e32 v3, vcc, v3, v6, vcc
	global_store_short v[4:5], v1, off
	v_add_co_u32_e32 v4, vcc, s28, v4
	v_cmp_lt_u64_e64 s[0:1], s[6:7], v[2:3]
	s_or_b64 s[26:27], s[0:1], s[26:27]
	v_addc_co_u32_e32 v5, vcc, v5, v7, vcc
	s_andn2_b64 exec, exec, s[26:27]
	s_cbranch_execnz .LBB11_12
.LBB11_13:
	s_or_b64 exec, exec, s[24:25]
	v_mov_b32_e32 v1, s3
	v_add_co_u32_e32 v2, vcc, s2, v0
	v_addc_co_u32_e32 v3, vcc, 0, v1, vcc
	v_cmp_gt_i64_e32 vcc, s[16:17], v[2:3]
	s_and_saveexec_b64 s[0:1], vcc
	s_cbranch_execz .LBB11_16
; %bb.14:
	s_load_dwordx4 s[0:3], s[4:5], 0x38
	s_load_dwordx2 s[24:25], s[4:5], 0x48
	s_load_dword s7, s[4:5], 0x7c
	v_mov_b32_e32 v6, s15
	s_waitcnt lgkmcnt(0)
	s_mul_i32 s3, s10, s3
	s_mul_hi_u32 s4, s10, s2
	s_add_i32 s3, s4, s3
	s_mul_i32 s4, s8, s25
	s_mul_hi_u32 s5, s8, s24
	s_add_i32 s9, s5, s4
	s_and_b32 s4, s7, 0xffff
	s_add_u32 s5, s22, s18
	s_mul_i32 s2, s10, s2
	s_addc_u32 s10, s23, s19
	s_add_u32 s11, s20, 1
	s_addc_u32 s18, s21, 0
	s_mul_i32 s18, s18, s6
	s_mul_hi_u32 s19, s11, s6
	s_add_i32 s19, s19, s18
	s_mul_i32 s11, s11, s6
	s_add_u32 s5, s5, s11
	s_mul_i32 s8, s8, s24
	s_addc_u32 s10, s10, s19
	v_add_co_u32_e32 v4, vcc, s5, v0
	s_lshl_b32 s5, s4, 1
	s_add_u32 s2, s8, s2
	s_addc_u32 s3, s9, s3
	s_add_u32 s0, s0, 1
	v_mov_b32_e32 v1, s10
	s_addc_u32 s1, s1, 0
	v_addc_co_u32_e32 v5, vcc, 0, v1, vcc
	s_mul_i32 s1, s1, s6
	s_mul_hi_u32 s8, s0, s6
	v_lshlrev_b64 v[4:5], 1, v[4:5]
	s_add_i32 s8, s8, s1
	s_mul_i32 s0, s0, s6
	v_add_co_u32_e32 v1, vcc, s14, v4
	s_add_u32 s0, s2, s0
	v_addc_co_u32_e32 v4, vcc, v6, v5, vcc
	s_addc_u32 s1, s3, s8
	v_mov_b32_e32 v5, s1
	v_add_co_u32_e32 v6, vcc, s0, v0
	v_addc_co_u32_e32 v7, vcc, 0, v5, vcc
	v_lshlrev_b64 v[6:7], 1, v[6:7]
	s_mov_b32 s7, 0
	v_mov_b32_e32 v5, s13
	v_add_co_u32_e32 v0, vcc, s12, v6
	v_addc_co_u32_e32 v5, vcc, v5, v7, vcc
	s_mov_b64 s[0:1], 2
	s_mov_b64 s[2:3], 0
	v_mov_b32_e32 v6, s7
.LBB11_15:                              ; =>This Inner Loop Header: Depth=1
	v_mov_b32_e32 v7, s1
	v_add_co_u32_e32 v8, vcc, s0, v0
	v_addc_co_u32_e32 v9, vcc, v5, v7, vcc
	global_load_ushort v10, v[8:9], off
	v_add_co_u32_e32 v2, vcc, s4, v2
	v_addc_co_u32_e32 v3, vcc, v3, v6, vcc
	v_add_co_u32_e32 v8, vcc, s0, v1
	s_add_u32 s0, s0, s5
	v_addc_co_u32_e32 v9, vcc, v4, v7, vcc
	s_addc_u32 s1, s1, 0
	v_cmp_le_i64_e32 vcc, s[16:17], v[2:3]
	s_or_b64 s[2:3], vcc, s[2:3]
	s_waitcnt vmcnt(0)
	global_store_short v[8:9], v10, off
	s_andn2_b64 exec, exec, s[2:3]
	s_cbranch_execnz .LBB11_15
.LBB11_16:
	s_endpgm
	.section	.rodata,"a",@progbits
	.p2align	6, 0x0
	.amdhsa_kernel _ZL10tri_kernelI14__hip_bfloat16Lb0ELi1EEvPKT_PS1_llllllllllll
		.amdhsa_group_segment_fixed_size 0
		.amdhsa_private_segment_fixed_size 0
		.amdhsa_kernarg_size 368
		.amdhsa_user_sgpr_count 6
		.amdhsa_user_sgpr_private_segment_buffer 1
		.amdhsa_user_sgpr_dispatch_ptr 0
		.amdhsa_user_sgpr_queue_ptr 0
		.amdhsa_user_sgpr_kernarg_segment_ptr 1
		.amdhsa_user_sgpr_dispatch_id 0
		.amdhsa_user_sgpr_flat_scratch_init 0
		.amdhsa_user_sgpr_kernarg_preload_length 0
		.amdhsa_user_sgpr_kernarg_preload_offset 0
		.amdhsa_user_sgpr_private_segment_size 0
		.amdhsa_uses_dynamic_stack 0
		.amdhsa_system_sgpr_private_segment_wavefront_offset 0
		.amdhsa_system_sgpr_workgroup_id_x 1
		.amdhsa_system_sgpr_workgroup_id_y 1
		.amdhsa_system_sgpr_workgroup_id_z 1
		.amdhsa_system_sgpr_workgroup_info 0
		.amdhsa_system_vgpr_workitem_id 0
		.amdhsa_next_free_vgpr 16
		.amdhsa_next_free_sgpr 40
		.amdhsa_accum_offset 16
		.amdhsa_reserve_vcc 1
		.amdhsa_reserve_flat_scratch 0
		.amdhsa_float_round_mode_32 0
		.amdhsa_float_round_mode_16_64 0
		.amdhsa_float_denorm_mode_32 3
		.amdhsa_float_denorm_mode_16_64 3
		.amdhsa_dx10_clamp 1
		.amdhsa_ieee_mode 1
		.amdhsa_fp16_overflow 0
		.amdhsa_tg_split 0
		.amdhsa_exception_fp_ieee_invalid_op 0
		.amdhsa_exception_fp_denorm_src 0
		.amdhsa_exception_fp_ieee_div_zero 0
		.amdhsa_exception_fp_ieee_overflow 0
		.amdhsa_exception_fp_ieee_underflow 0
		.amdhsa_exception_fp_ieee_inexact 0
		.amdhsa_exception_int_div_zero 0
	.end_amdhsa_kernel
	.section	.text._ZL10tri_kernelI14__hip_bfloat16Lb0ELi1EEvPKT_PS1_llllllllllll,"axG",@progbits,_ZL10tri_kernelI14__hip_bfloat16Lb0ELi1EEvPKT_PS1_llllllllllll,comdat
.Lfunc_end11:
	.size	_ZL10tri_kernelI14__hip_bfloat16Lb0ELi1EEvPKT_PS1_llllllllllll, .Lfunc_end11-_ZL10tri_kernelI14__hip_bfloat16Lb0ELi1EEvPKT_PS1_llllllllllll
                                        ; -- End function
	.section	.AMDGPU.csdata,"",@progbits
; Kernel info:
; codeLenInByte = 1688
; NumSgprs: 44
; NumVgprs: 16
; NumAgprs: 0
; TotalNumVgprs: 16
; ScratchSize: 0
; MemoryBound: 0
; FloatMode: 240
; IeeeMode: 1
; LDSByteSize: 0 bytes/workgroup (compile time only)
; SGPRBlocks: 5
; VGPRBlocks: 1
; NumSGPRsForWavesPerEU: 44
; NumVGPRsForWavesPerEU: 16
; AccumOffset: 16
; Occupancy: 8
; WaveLimiterHint : 0
; COMPUTE_PGM_RSRC2:SCRATCH_EN: 0
; COMPUTE_PGM_RSRC2:USER_SGPR: 6
; COMPUTE_PGM_RSRC2:TRAP_HANDLER: 0
; COMPUTE_PGM_RSRC2:TGID_X_EN: 1
; COMPUTE_PGM_RSRC2:TGID_Y_EN: 1
; COMPUTE_PGM_RSRC2:TGID_Z_EN: 1
; COMPUTE_PGM_RSRC2:TIDIG_COMP_CNT: 0
; COMPUTE_PGM_RSRC3_GFX90A:ACCUM_OFFSET: 3
; COMPUTE_PGM_RSRC3_GFX90A:TG_SPLIT: 0
	.text
	.p2alignl 6, 3212836864
	.fill 256, 4, 3212836864
	.type	__hip_cuid_8d6917501b754db6,@object ; @__hip_cuid_8d6917501b754db6
	.section	.bss,"aw",@nobits
	.globl	__hip_cuid_8d6917501b754db6
__hip_cuid_8d6917501b754db6:
	.byte	0                               ; 0x0
	.size	__hip_cuid_8d6917501b754db6, 1

	.ident	"AMD clang version 19.0.0git (https://github.com/RadeonOpenCompute/llvm-project roc-6.4.0 25133 c7fe45cf4b819c5991fe208aaa96edf142730f1d)"
	.section	".note.GNU-stack","",@progbits
	.addrsig
	.addrsig_sym __hip_cuid_8d6917501b754db6
	.amdgpu_metadata
---
amdhsa.kernels:
  - .agpr_count:     0
    .args:
      - .address_space:  global
        .offset:         0
        .size:           8
        .value_kind:     global_buffer
      - .address_space:  global
        .offset:         8
        .size:           8
        .value_kind:     global_buffer
      - .offset:         16
        .size:           8
        .value_kind:     by_value
      - .offset:         24
        .size:           8
        .value_kind:     by_value
      - .offset:         32
        .size:           8
        .value_kind:     by_value
      - .offset:         40
        .size:           8
        .value_kind:     by_value
      - .offset:         48
        .size:           8
        .value_kind:     by_value
      - .offset:         56
        .size:           8
        .value_kind:     by_value
      - .offset:         64
        .size:           8
        .value_kind:     by_value
      - .offset:         72
        .size:           8
        .value_kind:     by_value
      - .offset:         80
        .size:           8
        .value_kind:     by_value
      - .offset:         88
        .size:           8
        .value_kind:     by_value
      - .offset:         96
        .size:           8
        .value_kind:     by_value
      - .offset:         104
        .size:           8
        .value_kind:     by_value
      - .offset:         112
        .size:           4
        .value_kind:     hidden_block_count_x
      - .offset:         116
        .size:           4
        .value_kind:     hidden_block_count_y
      - .offset:         120
        .size:           4
        .value_kind:     hidden_block_count_z
      - .offset:         124
        .size:           2
        .value_kind:     hidden_group_size_x
      - .offset:         126
        .size:           2
        .value_kind:     hidden_group_size_y
      - .offset:         128
        .size:           2
        .value_kind:     hidden_group_size_z
      - .offset:         130
        .size:           2
        .value_kind:     hidden_remainder_x
      - .offset:         132
        .size:           2
        .value_kind:     hidden_remainder_y
      - .offset:         134
        .size:           2
        .value_kind:     hidden_remainder_z
      - .offset:         152
        .size:           8
        .value_kind:     hidden_global_offset_x
      - .offset:         160
        .size:           8
        .value_kind:     hidden_global_offset_y
      - .offset:         168
        .size:           8
        .value_kind:     hidden_global_offset_z
      - .offset:         176
        .size:           2
        .value_kind:     hidden_grid_dims
    .group_segment_fixed_size: 0
    .kernarg_segment_align: 8
    .kernarg_segment_size: 368
    .language:       OpenCL C
    .language_version:
      - 2
      - 0
    .max_flat_workgroup_size: 1024
    .name:           _ZL10tri_kernelIfLb1ELi0EEvPKT_PS0_llllllllllll
    .private_segment_fixed_size: 0
    .sgpr_count:     38
    .sgpr_spill_count: 0
    .symbol:         _ZL10tri_kernelIfLb1ELi0EEvPKT_PS0_llllllllllll.kd
    .uniform_work_group_size: 1
    .uses_dynamic_stack: false
    .vgpr_count:     14
    .vgpr_spill_count: 0
    .wavefront_size: 64
  - .agpr_count:     0
    .args:
      - .address_space:  global
        .offset:         0
        .size:           8
        .value_kind:     global_buffer
      - .address_space:  global
        .offset:         8
        .size:           8
        .value_kind:     global_buffer
      - .offset:         16
        .size:           8
        .value_kind:     by_value
      - .offset:         24
        .size:           8
        .value_kind:     by_value
      - .offset:         32
        .size:           8
        .value_kind:     by_value
      - .offset:         40
        .size:           8
        .value_kind:     by_value
      - .offset:         48
        .size:           8
        .value_kind:     by_value
      - .offset:         56
        .size:           8
        .value_kind:     by_value
      - .offset:         64
        .size:           8
        .value_kind:     by_value
      - .offset:         72
        .size:           8
        .value_kind:     by_value
      - .offset:         80
        .size:           8
        .value_kind:     by_value
      - .offset:         88
        .size:           8
        .value_kind:     by_value
      - .offset:         96
        .size:           8
        .value_kind:     by_value
      - .offset:         104
        .size:           8
        .value_kind:     by_value
      - .offset:         112
        .size:           4
        .value_kind:     hidden_block_count_x
      - .offset:         116
        .size:           4
        .value_kind:     hidden_block_count_y
      - .offset:         120
        .size:           4
        .value_kind:     hidden_block_count_z
      - .offset:         124
        .size:           2
        .value_kind:     hidden_group_size_x
      - .offset:         126
        .size:           2
        .value_kind:     hidden_group_size_y
      - .offset:         128
        .size:           2
        .value_kind:     hidden_group_size_z
      - .offset:         130
        .size:           2
        .value_kind:     hidden_remainder_x
      - .offset:         132
        .size:           2
        .value_kind:     hidden_remainder_y
      - .offset:         134
        .size:           2
        .value_kind:     hidden_remainder_z
      - .offset:         152
        .size:           8
        .value_kind:     hidden_global_offset_x
      - .offset:         160
        .size:           8
        .value_kind:     hidden_global_offset_y
      - .offset:         168
        .size:           8
        .value_kind:     hidden_global_offset_z
      - .offset:         176
        .size:           2
        .value_kind:     hidden_grid_dims
    .group_segment_fixed_size: 0
    .kernarg_segment_align: 8
    .kernarg_segment_size: 368
    .language:       OpenCL C
    .language_version:
      - 2
      - 0
    .max_flat_workgroup_size: 1024
    .name:           _ZL10tri_kernelIfLb1ELi1EEvPKT_PS0_llllllllllll
    .private_segment_fixed_size: 0
    .sgpr_count:     38
    .sgpr_spill_count: 0
    .symbol:         _ZL10tri_kernelIfLb1ELi1EEvPKT_PS0_llllllllllll.kd
    .uniform_work_group_size: 1
    .uses_dynamic_stack: false
    .vgpr_count:     16
    .vgpr_spill_count: 0
    .wavefront_size: 64
  - .agpr_count:     0
    .args:
      - .address_space:  global
        .offset:         0
        .size:           8
        .value_kind:     global_buffer
      - .address_space:  global
        .offset:         8
        .size:           8
        .value_kind:     global_buffer
      - .offset:         16
        .size:           8
        .value_kind:     by_value
      - .offset:         24
        .size:           8
        .value_kind:     by_value
      - .offset:         32
        .size:           8
        .value_kind:     by_value
      - .offset:         40
        .size:           8
        .value_kind:     by_value
      - .offset:         48
        .size:           8
        .value_kind:     by_value
      - .offset:         56
        .size:           8
        .value_kind:     by_value
      - .offset:         64
        .size:           8
        .value_kind:     by_value
      - .offset:         72
        .size:           8
        .value_kind:     by_value
      - .offset:         80
        .size:           8
        .value_kind:     by_value
      - .offset:         88
        .size:           8
        .value_kind:     by_value
      - .offset:         96
        .size:           8
        .value_kind:     by_value
      - .offset:         104
        .size:           8
        .value_kind:     by_value
      - .offset:         112
        .size:           4
        .value_kind:     hidden_block_count_x
      - .offset:         116
        .size:           4
        .value_kind:     hidden_block_count_y
      - .offset:         120
        .size:           4
        .value_kind:     hidden_block_count_z
      - .offset:         124
        .size:           2
        .value_kind:     hidden_group_size_x
      - .offset:         126
        .size:           2
        .value_kind:     hidden_group_size_y
      - .offset:         128
        .size:           2
        .value_kind:     hidden_group_size_z
      - .offset:         130
        .size:           2
        .value_kind:     hidden_remainder_x
      - .offset:         132
        .size:           2
        .value_kind:     hidden_remainder_y
      - .offset:         134
        .size:           2
        .value_kind:     hidden_remainder_z
      - .offset:         152
        .size:           8
        .value_kind:     hidden_global_offset_x
      - .offset:         160
        .size:           8
        .value_kind:     hidden_global_offset_y
      - .offset:         168
        .size:           8
        .value_kind:     hidden_global_offset_z
      - .offset:         176
        .size:           2
        .value_kind:     hidden_grid_dims
    .group_segment_fixed_size: 0
    .kernarg_segment_align: 8
    .kernarg_segment_size: 368
    .language:       OpenCL C
    .language_version:
      - 2
      - 0
    .max_flat_workgroup_size: 1024
    .name:           _ZL10tri_kernelIfLb0ELi0EEvPKT_PS0_llllllllllll
    .private_segment_fixed_size: 0
    .sgpr_count:     44
    .sgpr_spill_count: 0
    .symbol:         _ZL10tri_kernelIfLb0ELi0EEvPKT_PS0_llllllllllll.kd
    .uniform_work_group_size: 1
    .uses_dynamic_stack: false
    .vgpr_count:     16
    .vgpr_spill_count: 0
    .wavefront_size: 64
  - .agpr_count:     0
    .args:
      - .address_space:  global
        .offset:         0
        .size:           8
        .value_kind:     global_buffer
      - .address_space:  global
        .offset:         8
        .size:           8
        .value_kind:     global_buffer
      - .offset:         16
        .size:           8
        .value_kind:     by_value
      - .offset:         24
        .size:           8
        .value_kind:     by_value
      - .offset:         32
        .size:           8
        .value_kind:     by_value
      - .offset:         40
        .size:           8
        .value_kind:     by_value
      - .offset:         48
        .size:           8
        .value_kind:     by_value
      - .offset:         56
        .size:           8
        .value_kind:     by_value
      - .offset:         64
        .size:           8
        .value_kind:     by_value
      - .offset:         72
        .size:           8
        .value_kind:     by_value
      - .offset:         80
        .size:           8
        .value_kind:     by_value
      - .offset:         88
        .size:           8
        .value_kind:     by_value
      - .offset:         96
        .size:           8
        .value_kind:     by_value
      - .offset:         104
        .size:           8
        .value_kind:     by_value
      - .offset:         112
        .size:           4
        .value_kind:     hidden_block_count_x
      - .offset:         116
        .size:           4
        .value_kind:     hidden_block_count_y
      - .offset:         120
        .size:           4
        .value_kind:     hidden_block_count_z
      - .offset:         124
        .size:           2
        .value_kind:     hidden_group_size_x
      - .offset:         126
        .size:           2
        .value_kind:     hidden_group_size_y
      - .offset:         128
        .size:           2
        .value_kind:     hidden_group_size_z
      - .offset:         130
        .size:           2
        .value_kind:     hidden_remainder_x
      - .offset:         132
        .size:           2
        .value_kind:     hidden_remainder_y
      - .offset:         134
        .size:           2
        .value_kind:     hidden_remainder_z
      - .offset:         152
        .size:           8
        .value_kind:     hidden_global_offset_x
      - .offset:         160
        .size:           8
        .value_kind:     hidden_global_offset_y
      - .offset:         168
        .size:           8
        .value_kind:     hidden_global_offset_z
      - .offset:         176
        .size:           2
        .value_kind:     hidden_grid_dims
    .group_segment_fixed_size: 0
    .kernarg_segment_align: 8
    .kernarg_segment_size: 368
    .language:       OpenCL C
    .language_version:
      - 2
      - 0
    .max_flat_workgroup_size: 1024
    .name:           _ZL10tri_kernelIfLb0ELi1EEvPKT_PS0_llllllllllll
    .private_segment_fixed_size: 0
    .sgpr_count:     44
    .sgpr_spill_count: 0
    .symbol:         _ZL10tri_kernelIfLb0ELi1EEvPKT_PS0_llllllllllll.kd
    .uniform_work_group_size: 1
    .uses_dynamic_stack: false
    .vgpr_count:     16
    .vgpr_spill_count: 0
    .wavefront_size: 64
  - .agpr_count:     0
    .args:
      - .address_space:  global
        .offset:         0
        .size:           8
        .value_kind:     global_buffer
      - .address_space:  global
        .offset:         8
        .size:           8
        .value_kind:     global_buffer
      - .offset:         16
        .size:           8
        .value_kind:     by_value
      - .offset:         24
        .size:           8
        .value_kind:     by_value
      - .offset:         32
        .size:           8
        .value_kind:     by_value
      - .offset:         40
        .size:           8
        .value_kind:     by_value
      - .offset:         48
        .size:           8
        .value_kind:     by_value
      - .offset:         56
        .size:           8
        .value_kind:     by_value
      - .offset:         64
        .size:           8
        .value_kind:     by_value
      - .offset:         72
        .size:           8
        .value_kind:     by_value
      - .offset:         80
        .size:           8
        .value_kind:     by_value
      - .offset:         88
        .size:           8
        .value_kind:     by_value
      - .offset:         96
        .size:           8
        .value_kind:     by_value
      - .offset:         104
        .size:           8
        .value_kind:     by_value
      - .offset:         112
        .size:           4
        .value_kind:     hidden_block_count_x
      - .offset:         116
        .size:           4
        .value_kind:     hidden_block_count_y
      - .offset:         120
        .size:           4
        .value_kind:     hidden_block_count_z
      - .offset:         124
        .size:           2
        .value_kind:     hidden_group_size_x
      - .offset:         126
        .size:           2
        .value_kind:     hidden_group_size_y
      - .offset:         128
        .size:           2
        .value_kind:     hidden_group_size_z
      - .offset:         130
        .size:           2
        .value_kind:     hidden_remainder_x
      - .offset:         132
        .size:           2
        .value_kind:     hidden_remainder_y
      - .offset:         134
        .size:           2
        .value_kind:     hidden_remainder_z
      - .offset:         152
        .size:           8
        .value_kind:     hidden_global_offset_x
      - .offset:         160
        .size:           8
        .value_kind:     hidden_global_offset_y
      - .offset:         168
        .size:           8
        .value_kind:     hidden_global_offset_z
      - .offset:         176
        .size:           2
        .value_kind:     hidden_grid_dims
    .group_segment_fixed_size: 0
    .kernarg_segment_align: 8
    .kernarg_segment_size: 368
    .language:       OpenCL C
    .language_version:
      - 2
      - 0
    .max_flat_workgroup_size: 1024
    .name:           _ZL10tri_kernelI6__halfLb1ELi0EEvPKT_PS1_llllllllllll
    .private_segment_fixed_size: 0
    .sgpr_count:     38
    .sgpr_spill_count: 0
    .symbol:         _ZL10tri_kernelI6__halfLb1ELi0EEvPKT_PS1_llllllllllll.kd
    .uniform_work_group_size: 1
    .uses_dynamic_stack: false
    .vgpr_count:     14
    .vgpr_spill_count: 0
    .wavefront_size: 64
  - .agpr_count:     0
    .args:
      - .address_space:  global
        .offset:         0
        .size:           8
        .value_kind:     global_buffer
      - .address_space:  global
        .offset:         8
        .size:           8
        .value_kind:     global_buffer
      - .offset:         16
        .size:           8
        .value_kind:     by_value
      - .offset:         24
        .size:           8
        .value_kind:     by_value
      - .offset:         32
        .size:           8
        .value_kind:     by_value
      - .offset:         40
        .size:           8
        .value_kind:     by_value
      - .offset:         48
        .size:           8
        .value_kind:     by_value
      - .offset:         56
        .size:           8
        .value_kind:     by_value
      - .offset:         64
        .size:           8
        .value_kind:     by_value
      - .offset:         72
        .size:           8
        .value_kind:     by_value
      - .offset:         80
        .size:           8
        .value_kind:     by_value
      - .offset:         88
        .size:           8
        .value_kind:     by_value
      - .offset:         96
        .size:           8
        .value_kind:     by_value
      - .offset:         104
        .size:           8
        .value_kind:     by_value
      - .offset:         112
        .size:           4
        .value_kind:     hidden_block_count_x
      - .offset:         116
        .size:           4
        .value_kind:     hidden_block_count_y
      - .offset:         120
        .size:           4
        .value_kind:     hidden_block_count_z
      - .offset:         124
        .size:           2
        .value_kind:     hidden_group_size_x
      - .offset:         126
        .size:           2
        .value_kind:     hidden_group_size_y
      - .offset:         128
        .size:           2
        .value_kind:     hidden_group_size_z
      - .offset:         130
        .size:           2
        .value_kind:     hidden_remainder_x
      - .offset:         132
        .size:           2
        .value_kind:     hidden_remainder_y
      - .offset:         134
        .size:           2
        .value_kind:     hidden_remainder_z
      - .offset:         152
        .size:           8
        .value_kind:     hidden_global_offset_x
      - .offset:         160
        .size:           8
        .value_kind:     hidden_global_offset_y
      - .offset:         168
        .size:           8
        .value_kind:     hidden_global_offset_z
      - .offset:         176
        .size:           2
        .value_kind:     hidden_grid_dims
    .group_segment_fixed_size: 0
    .kernarg_segment_align: 8
    .kernarg_segment_size: 368
    .language:       OpenCL C
    .language_version:
      - 2
      - 0
    .max_flat_workgroup_size: 1024
    .name:           _ZL10tri_kernelI6__halfLb1ELi1EEvPKT_PS1_llllllllllll
    .private_segment_fixed_size: 0
    .sgpr_count:     38
    .sgpr_spill_count: 0
    .symbol:         _ZL10tri_kernelI6__halfLb1ELi1EEvPKT_PS1_llllllllllll.kd
    .uniform_work_group_size: 1
    .uses_dynamic_stack: false
    .vgpr_count:     16
    .vgpr_spill_count: 0
    .wavefront_size: 64
  - .agpr_count:     0
    .args:
      - .address_space:  global
        .offset:         0
        .size:           8
        .value_kind:     global_buffer
      - .address_space:  global
        .offset:         8
        .size:           8
        .value_kind:     global_buffer
      - .offset:         16
        .size:           8
        .value_kind:     by_value
      - .offset:         24
        .size:           8
        .value_kind:     by_value
      - .offset:         32
        .size:           8
        .value_kind:     by_value
      - .offset:         40
        .size:           8
        .value_kind:     by_value
      - .offset:         48
        .size:           8
        .value_kind:     by_value
      - .offset:         56
        .size:           8
        .value_kind:     by_value
      - .offset:         64
        .size:           8
        .value_kind:     by_value
      - .offset:         72
        .size:           8
        .value_kind:     by_value
      - .offset:         80
        .size:           8
        .value_kind:     by_value
      - .offset:         88
        .size:           8
        .value_kind:     by_value
      - .offset:         96
        .size:           8
        .value_kind:     by_value
      - .offset:         104
        .size:           8
        .value_kind:     by_value
      - .offset:         112
        .size:           4
        .value_kind:     hidden_block_count_x
      - .offset:         116
        .size:           4
        .value_kind:     hidden_block_count_y
      - .offset:         120
        .size:           4
        .value_kind:     hidden_block_count_z
      - .offset:         124
        .size:           2
        .value_kind:     hidden_group_size_x
      - .offset:         126
        .size:           2
        .value_kind:     hidden_group_size_y
      - .offset:         128
        .size:           2
        .value_kind:     hidden_group_size_z
      - .offset:         130
        .size:           2
        .value_kind:     hidden_remainder_x
      - .offset:         132
        .size:           2
        .value_kind:     hidden_remainder_y
      - .offset:         134
        .size:           2
        .value_kind:     hidden_remainder_z
      - .offset:         152
        .size:           8
        .value_kind:     hidden_global_offset_x
      - .offset:         160
        .size:           8
        .value_kind:     hidden_global_offset_y
      - .offset:         168
        .size:           8
        .value_kind:     hidden_global_offset_z
      - .offset:         176
        .size:           2
        .value_kind:     hidden_grid_dims
    .group_segment_fixed_size: 0
    .kernarg_segment_align: 8
    .kernarg_segment_size: 368
    .language:       OpenCL C
    .language_version:
      - 2
      - 0
    .max_flat_workgroup_size: 1024
    .name:           _ZL10tri_kernelI6__halfLb0ELi0EEvPKT_PS1_llllllllllll
    .private_segment_fixed_size: 0
    .sgpr_count:     44
    .sgpr_spill_count: 0
    .symbol:         _ZL10tri_kernelI6__halfLb0ELi0EEvPKT_PS1_llllllllllll.kd
    .uniform_work_group_size: 1
    .uses_dynamic_stack: false
    .vgpr_count:     16
    .vgpr_spill_count: 0
    .wavefront_size: 64
  - .agpr_count:     0
    .args:
      - .address_space:  global
        .offset:         0
        .size:           8
        .value_kind:     global_buffer
      - .address_space:  global
        .offset:         8
        .size:           8
        .value_kind:     global_buffer
      - .offset:         16
        .size:           8
        .value_kind:     by_value
      - .offset:         24
        .size:           8
        .value_kind:     by_value
      - .offset:         32
        .size:           8
        .value_kind:     by_value
      - .offset:         40
        .size:           8
        .value_kind:     by_value
      - .offset:         48
        .size:           8
        .value_kind:     by_value
      - .offset:         56
        .size:           8
        .value_kind:     by_value
      - .offset:         64
        .size:           8
        .value_kind:     by_value
      - .offset:         72
        .size:           8
        .value_kind:     by_value
      - .offset:         80
        .size:           8
        .value_kind:     by_value
      - .offset:         88
        .size:           8
        .value_kind:     by_value
      - .offset:         96
        .size:           8
        .value_kind:     by_value
      - .offset:         104
        .size:           8
        .value_kind:     by_value
      - .offset:         112
        .size:           4
        .value_kind:     hidden_block_count_x
      - .offset:         116
        .size:           4
        .value_kind:     hidden_block_count_y
      - .offset:         120
        .size:           4
        .value_kind:     hidden_block_count_z
      - .offset:         124
        .size:           2
        .value_kind:     hidden_group_size_x
      - .offset:         126
        .size:           2
        .value_kind:     hidden_group_size_y
      - .offset:         128
        .size:           2
        .value_kind:     hidden_group_size_z
      - .offset:         130
        .size:           2
        .value_kind:     hidden_remainder_x
      - .offset:         132
        .size:           2
        .value_kind:     hidden_remainder_y
      - .offset:         134
        .size:           2
        .value_kind:     hidden_remainder_z
      - .offset:         152
        .size:           8
        .value_kind:     hidden_global_offset_x
      - .offset:         160
        .size:           8
        .value_kind:     hidden_global_offset_y
      - .offset:         168
        .size:           8
        .value_kind:     hidden_global_offset_z
      - .offset:         176
        .size:           2
        .value_kind:     hidden_grid_dims
    .group_segment_fixed_size: 0
    .kernarg_segment_align: 8
    .kernarg_segment_size: 368
    .language:       OpenCL C
    .language_version:
      - 2
      - 0
    .max_flat_workgroup_size: 1024
    .name:           _ZL10tri_kernelI6__halfLb0ELi1EEvPKT_PS1_llllllllllll
    .private_segment_fixed_size: 0
    .sgpr_count:     44
    .sgpr_spill_count: 0
    .symbol:         _ZL10tri_kernelI6__halfLb0ELi1EEvPKT_PS1_llllllllllll.kd
    .uniform_work_group_size: 1
    .uses_dynamic_stack: false
    .vgpr_count:     16
    .vgpr_spill_count: 0
    .wavefront_size: 64
  - .agpr_count:     0
    .args:
      - .address_space:  global
        .offset:         0
        .size:           8
        .value_kind:     global_buffer
      - .address_space:  global
        .offset:         8
        .size:           8
        .value_kind:     global_buffer
      - .offset:         16
        .size:           8
        .value_kind:     by_value
      - .offset:         24
        .size:           8
        .value_kind:     by_value
      - .offset:         32
        .size:           8
        .value_kind:     by_value
      - .offset:         40
        .size:           8
        .value_kind:     by_value
      - .offset:         48
        .size:           8
        .value_kind:     by_value
      - .offset:         56
        .size:           8
        .value_kind:     by_value
      - .offset:         64
        .size:           8
        .value_kind:     by_value
      - .offset:         72
        .size:           8
        .value_kind:     by_value
      - .offset:         80
        .size:           8
        .value_kind:     by_value
      - .offset:         88
        .size:           8
        .value_kind:     by_value
      - .offset:         96
        .size:           8
        .value_kind:     by_value
      - .offset:         104
        .size:           8
        .value_kind:     by_value
      - .offset:         112
        .size:           4
        .value_kind:     hidden_block_count_x
      - .offset:         116
        .size:           4
        .value_kind:     hidden_block_count_y
      - .offset:         120
        .size:           4
        .value_kind:     hidden_block_count_z
      - .offset:         124
        .size:           2
        .value_kind:     hidden_group_size_x
      - .offset:         126
        .size:           2
        .value_kind:     hidden_group_size_y
      - .offset:         128
        .size:           2
        .value_kind:     hidden_group_size_z
      - .offset:         130
        .size:           2
        .value_kind:     hidden_remainder_x
      - .offset:         132
        .size:           2
        .value_kind:     hidden_remainder_y
      - .offset:         134
        .size:           2
        .value_kind:     hidden_remainder_z
      - .offset:         152
        .size:           8
        .value_kind:     hidden_global_offset_x
      - .offset:         160
        .size:           8
        .value_kind:     hidden_global_offset_y
      - .offset:         168
        .size:           8
        .value_kind:     hidden_global_offset_z
      - .offset:         176
        .size:           2
        .value_kind:     hidden_grid_dims
    .group_segment_fixed_size: 0
    .kernarg_segment_align: 8
    .kernarg_segment_size: 368
    .language:       OpenCL C
    .language_version:
      - 2
      - 0
    .max_flat_workgroup_size: 1024
    .name:           _ZL10tri_kernelI14__hip_bfloat16Lb1ELi0EEvPKT_PS1_llllllllllll
    .private_segment_fixed_size: 0
    .sgpr_count:     38
    .sgpr_spill_count: 0
    .symbol:         _ZL10tri_kernelI14__hip_bfloat16Lb1ELi0EEvPKT_PS1_llllllllllll.kd
    .uniform_work_group_size: 1
    .uses_dynamic_stack: false
    .vgpr_count:     14
    .vgpr_spill_count: 0
    .wavefront_size: 64
  - .agpr_count:     0
    .args:
      - .address_space:  global
        .offset:         0
        .size:           8
        .value_kind:     global_buffer
      - .address_space:  global
        .offset:         8
        .size:           8
        .value_kind:     global_buffer
      - .offset:         16
        .size:           8
        .value_kind:     by_value
      - .offset:         24
        .size:           8
        .value_kind:     by_value
      - .offset:         32
        .size:           8
        .value_kind:     by_value
      - .offset:         40
        .size:           8
        .value_kind:     by_value
      - .offset:         48
        .size:           8
        .value_kind:     by_value
      - .offset:         56
        .size:           8
        .value_kind:     by_value
      - .offset:         64
        .size:           8
        .value_kind:     by_value
      - .offset:         72
        .size:           8
        .value_kind:     by_value
      - .offset:         80
        .size:           8
        .value_kind:     by_value
      - .offset:         88
        .size:           8
        .value_kind:     by_value
      - .offset:         96
        .size:           8
        .value_kind:     by_value
      - .offset:         104
        .size:           8
        .value_kind:     by_value
      - .offset:         112
        .size:           4
        .value_kind:     hidden_block_count_x
      - .offset:         116
        .size:           4
        .value_kind:     hidden_block_count_y
      - .offset:         120
        .size:           4
        .value_kind:     hidden_block_count_z
      - .offset:         124
        .size:           2
        .value_kind:     hidden_group_size_x
      - .offset:         126
        .size:           2
        .value_kind:     hidden_group_size_y
      - .offset:         128
        .size:           2
        .value_kind:     hidden_group_size_z
      - .offset:         130
        .size:           2
        .value_kind:     hidden_remainder_x
      - .offset:         132
        .size:           2
        .value_kind:     hidden_remainder_y
      - .offset:         134
        .size:           2
        .value_kind:     hidden_remainder_z
      - .offset:         152
        .size:           8
        .value_kind:     hidden_global_offset_x
      - .offset:         160
        .size:           8
        .value_kind:     hidden_global_offset_y
      - .offset:         168
        .size:           8
        .value_kind:     hidden_global_offset_z
      - .offset:         176
        .size:           2
        .value_kind:     hidden_grid_dims
    .group_segment_fixed_size: 0
    .kernarg_segment_align: 8
    .kernarg_segment_size: 368
    .language:       OpenCL C
    .language_version:
      - 2
      - 0
    .max_flat_workgroup_size: 1024
    .name:           _ZL10tri_kernelI14__hip_bfloat16Lb1ELi1EEvPKT_PS1_llllllllllll
    .private_segment_fixed_size: 0
    .sgpr_count:     38
    .sgpr_spill_count: 0
    .symbol:         _ZL10tri_kernelI14__hip_bfloat16Lb1ELi1EEvPKT_PS1_llllllllllll.kd
    .uniform_work_group_size: 1
    .uses_dynamic_stack: false
    .vgpr_count:     16
    .vgpr_spill_count: 0
    .wavefront_size: 64
  - .agpr_count:     0
    .args:
      - .address_space:  global
        .offset:         0
        .size:           8
        .value_kind:     global_buffer
      - .address_space:  global
        .offset:         8
        .size:           8
        .value_kind:     global_buffer
      - .offset:         16
        .size:           8
        .value_kind:     by_value
      - .offset:         24
        .size:           8
        .value_kind:     by_value
      - .offset:         32
        .size:           8
        .value_kind:     by_value
      - .offset:         40
        .size:           8
        .value_kind:     by_value
      - .offset:         48
        .size:           8
        .value_kind:     by_value
      - .offset:         56
        .size:           8
        .value_kind:     by_value
      - .offset:         64
        .size:           8
        .value_kind:     by_value
      - .offset:         72
        .size:           8
        .value_kind:     by_value
      - .offset:         80
        .size:           8
        .value_kind:     by_value
      - .offset:         88
        .size:           8
        .value_kind:     by_value
      - .offset:         96
        .size:           8
        .value_kind:     by_value
      - .offset:         104
        .size:           8
        .value_kind:     by_value
      - .offset:         112
        .size:           4
        .value_kind:     hidden_block_count_x
      - .offset:         116
        .size:           4
        .value_kind:     hidden_block_count_y
      - .offset:         120
        .size:           4
        .value_kind:     hidden_block_count_z
      - .offset:         124
        .size:           2
        .value_kind:     hidden_group_size_x
      - .offset:         126
        .size:           2
        .value_kind:     hidden_group_size_y
      - .offset:         128
        .size:           2
        .value_kind:     hidden_group_size_z
      - .offset:         130
        .size:           2
        .value_kind:     hidden_remainder_x
      - .offset:         132
        .size:           2
        .value_kind:     hidden_remainder_y
      - .offset:         134
        .size:           2
        .value_kind:     hidden_remainder_z
      - .offset:         152
        .size:           8
        .value_kind:     hidden_global_offset_x
      - .offset:         160
        .size:           8
        .value_kind:     hidden_global_offset_y
      - .offset:         168
        .size:           8
        .value_kind:     hidden_global_offset_z
      - .offset:         176
        .size:           2
        .value_kind:     hidden_grid_dims
    .group_segment_fixed_size: 0
    .kernarg_segment_align: 8
    .kernarg_segment_size: 368
    .language:       OpenCL C
    .language_version:
      - 2
      - 0
    .max_flat_workgroup_size: 1024
    .name:           _ZL10tri_kernelI14__hip_bfloat16Lb0ELi0EEvPKT_PS1_llllllllllll
    .private_segment_fixed_size: 0
    .sgpr_count:     44
    .sgpr_spill_count: 0
    .symbol:         _ZL10tri_kernelI14__hip_bfloat16Lb0ELi0EEvPKT_PS1_llllllllllll.kd
    .uniform_work_group_size: 1
    .uses_dynamic_stack: false
    .vgpr_count:     16
    .vgpr_spill_count: 0
    .wavefront_size: 64
  - .agpr_count:     0
    .args:
      - .address_space:  global
        .offset:         0
        .size:           8
        .value_kind:     global_buffer
      - .address_space:  global
        .offset:         8
        .size:           8
        .value_kind:     global_buffer
      - .offset:         16
        .size:           8
        .value_kind:     by_value
      - .offset:         24
        .size:           8
        .value_kind:     by_value
      - .offset:         32
        .size:           8
        .value_kind:     by_value
      - .offset:         40
        .size:           8
        .value_kind:     by_value
      - .offset:         48
        .size:           8
        .value_kind:     by_value
      - .offset:         56
        .size:           8
        .value_kind:     by_value
      - .offset:         64
        .size:           8
        .value_kind:     by_value
      - .offset:         72
        .size:           8
        .value_kind:     by_value
      - .offset:         80
        .size:           8
        .value_kind:     by_value
      - .offset:         88
        .size:           8
        .value_kind:     by_value
      - .offset:         96
        .size:           8
        .value_kind:     by_value
      - .offset:         104
        .size:           8
        .value_kind:     by_value
      - .offset:         112
        .size:           4
        .value_kind:     hidden_block_count_x
      - .offset:         116
        .size:           4
        .value_kind:     hidden_block_count_y
      - .offset:         120
        .size:           4
        .value_kind:     hidden_block_count_z
      - .offset:         124
        .size:           2
        .value_kind:     hidden_group_size_x
      - .offset:         126
        .size:           2
        .value_kind:     hidden_group_size_y
      - .offset:         128
        .size:           2
        .value_kind:     hidden_group_size_z
      - .offset:         130
        .size:           2
        .value_kind:     hidden_remainder_x
      - .offset:         132
        .size:           2
        .value_kind:     hidden_remainder_y
      - .offset:         134
        .size:           2
        .value_kind:     hidden_remainder_z
      - .offset:         152
        .size:           8
        .value_kind:     hidden_global_offset_x
      - .offset:         160
        .size:           8
        .value_kind:     hidden_global_offset_y
      - .offset:         168
        .size:           8
        .value_kind:     hidden_global_offset_z
      - .offset:         176
        .size:           2
        .value_kind:     hidden_grid_dims
    .group_segment_fixed_size: 0
    .kernarg_segment_align: 8
    .kernarg_segment_size: 368
    .language:       OpenCL C
    .language_version:
      - 2
      - 0
    .max_flat_workgroup_size: 1024
    .name:           _ZL10tri_kernelI14__hip_bfloat16Lb0ELi1EEvPKT_PS1_llllllllllll
    .private_segment_fixed_size: 0
    .sgpr_count:     44
    .sgpr_spill_count: 0
    .symbol:         _ZL10tri_kernelI14__hip_bfloat16Lb0ELi1EEvPKT_PS1_llllllllllll.kd
    .uniform_work_group_size: 1
    .uses_dynamic_stack: false
    .vgpr_count:     16
    .vgpr_spill_count: 0
    .wavefront_size: 64
amdhsa.target:   amdgcn-amd-amdhsa--gfx90a
amdhsa.version:
  - 1
  - 2
...

	.end_amdgpu_metadata
